;; amdgpu-corpus repo=ROCm/Tensile kind=harvested arch=n/a opt=n/a

/******************************************/
/* Function Prefix                        */
/******************************************/



/******************************************/
/* Begin Kernel                           */
/******************************************/

// Component.Signature.SignatureDefault
.amdgcn_target "amdgcn-amd-amdhsa--gfx908"
.text
.protected Cijk_Ailk_Bljk_BBS_BH_MT128x64x64_MI32x32x4x1_SE_1LDSB0_APM1_AF0EM8_AF1EM1_AMAS0_ASE_ASAE01_ASCE01_ASEM1_BL1_DTLA0_DTLB0_DVO0_EPS1_FL0_GLVWA8_GLVWB8_GRVW8_GSU5_GSUAMB_ISA908_IU1_K1_KLA_LBSPPA0_LBSPPB128_LPA0_LPB8_LDL1_LRVW4_LDW0_MAC_MDA2_MMFGLC_NTC0_NTD0_NEPBS0_NLCA1_NLCB1_ONLL1_OPLV0_PK0_PAP0_PGR1_PLR17_SIA3_SS0_SU0_SUM0_SUS0_SPO0_SRVW4_SSO0_SVW4_SNLL0_TT2_32_TLDS1_UMLDSA0_UMLDSB1_USFGROn1_VAW1_VSn1_VW1_VWB1_WSGRA1_WSGRB1_WG64_4_1_WGM2
.globl Cijk_Ailk_Bljk_BBS_BH_MT128x64x64_MI32x32x4x1_SE_1LDSB0_APM1_AF0EM8_AF1EM1_AMAS0_ASE_ASAE01_ASCE01_ASEM1_BL1_DTLA0_DTLB0_DVO0_EPS1_FL0_GLVWA8_GLVWB8_GRVW8_GSU5_GSUAMB_ISA908_IU1_K1_KLA_LBSPPA0_LBSPPB128_LPA0_LPB8_LDL1_LRVW4_LDW0_MAC_MDA2_MMFGLC_NTC0_NTD0_NEPBS0_NLCA1_NLCB1_ONLL1_OPLV0_PK0_PAP0_PGR1_PLR17_SIA3_SS0_SU0_SUM0_SUS0_SPO0_SRVW4_SSO0_SVW4_SNLL0_TT2_32_TLDS1_UMLDSA0_UMLDSB1_USFGROn1_VAW1_VSn1_VW1_VWB1_WSGRA1_WSGRB1_WG64_4_1_WGM2
.p2align 8
.type Cijk_Ailk_Bljk_BBS_BH_MT128x64x64_MI32x32x4x1_SE_1LDSB0_APM1_AF0EM8_AF1EM1_AMAS0_ASE_ASAE01_ASCE01_ASEM1_BL1_DTLA0_DTLB0_DVO0_EPS1_FL0_GLVWA8_GLVWB8_GRVW8_GSU5_GSUAMB_ISA908_IU1_K1_KLA_LBSPPA0_LBSPPB128_LPA0_LPB8_LDL1_LRVW4_LDW0_MAC_MDA2_MMFGLC_NTC0_NTD0_NEPBS0_NLCA1_NLCB1_ONLL1_OPLV0_PK0_PAP0_PGR1_PLR17_SIA3_SS0_SU0_SUM0_SUS0_SPO0_SRVW4_SSO0_SVW4_SNLL0_TT2_32_TLDS1_UMLDSA0_UMLDSB1_USFGROn1_VAW1_VSn1_VW1_VWB1_WSGRA1_WSGRB1_WG64_4_1_WGM2,@function
.section .rodata,#alloc
.p2align 6
.amdhsa_kernel Cijk_Ailk_Bljk_BBS_BH_MT128x64x64_MI32x32x4x1_SE_1LDSB0_APM1_AF0EM8_AF1EM1_AMAS0_ASE_ASAE01_ASCE01_ASEM1_BL1_DTLA0_DTLB0_DVO0_EPS1_FL0_GLVWA8_GLVWB8_GRVW8_GSU5_GSUAMB_ISA908_IU1_K1_KLA_LBSPPA0_LBSPPB128_LPA0_LPB8_LDL1_LRVW4_LDW0_MAC_MDA2_MMFGLC_NTC0_NTD0_NEPBS0_NLCA1_NLCB1_ONLL1_OPLV0_PK0_PAP0_PGR1_PLR17_SIA3_SS0_SU0_SUM0_SUS0_SPO0_SRVW4_SSO0_SVW4_SNLL0_TT2_32_TLDS1_UMLDSA0_UMLDSB1_USFGROn1_VAW1_VSn1_VW1_VWB1_WSGRA1_WSGRB1_WG64_4_1_WGM2
  .amdhsa_user_sgpr_kernarg_segment_ptr 1
  .amdhsa_user_sgpr_count 2
  .amdhsa_next_free_vgpr 256 // vgprs
  .amdhsa_next_free_sgpr 66 // sgprs
  .amdhsa_group_segment_fixed_size 58368 // lds bytes
  .amdhsa_private_segment_fixed_size 0
  .amdhsa_system_sgpr_workgroup_id_x 1
  .amdhsa_system_sgpr_workgroup_id_y 1
  .amdhsa_system_sgpr_workgroup_id_z 1
  .amdhsa_system_vgpr_workitem_id 0
  .amdhsa_float_denorm_mode_32 3
  .amdhsa_float_denorm_mode_16_64 3
.end_amdhsa_kernel
.text

/******************************************/
/* Optimizations and Config:              */
/******************************************/
/* ThreadTile= 32 x 1 */
/* SubGroup= 4 x 64 */
/* VectorWidthA=1 */
/* VectorWidthB=1 */
/* GlobalLoadVectorWidthA=8, GlobalLoadVectorWidthB=8 */
/* DirectToLdsA=False */
/* DirectToLdsB=False */
/* UseSgprForGRO=1 */
.amdgpu_metadata
---
amdhsa.version:
  - 1
  - 1
amdhsa.target: amdgcn-amd-amdhsa--gfx908
amdhsa.kernels:
  - .name: Cijk_Ailk_Bljk_BBS_BH_MT128x64x64_MI32x32x4x1_SE_1LDSB0_APM1_AF0EM8_AF1EM1_AMAS0_ASE_ASAE01_ASCE01_ASEM1_BL1_DTLA0_DTLB0_DVO0_EPS1_FL0_GLVWA8_GLVWB8_GRVW8_GSU5_GSUAMB_ISA908_IU1_K1_KLA_LBSPPA0_LBSPPB128_LPA0_LPB8_LDL1_LRVW4_LDW0_MAC_MDA2_MMFGLC_NTC0_NTD0_NEPBS0_NLCA1_NLCB1_ONLL1_OPLV0_PK0_PAP0_PGR1_PLR17_SIA3_SS0_SU0_SUM0_SUS0_SPO0_SRVW4_SSO0_SVW4_SNLL0_TT2_32_TLDS1_UMLDSA0_UMLDSB1_USFGROn1_VAW1_VSn1_VW1_VWB1_WSGRA1_WSGRB1_WG64_4_1_WGM2
    .symbol: 'Cijk_Ailk_Bljk_BBS_BH_MT128x64x64_MI32x32x4x1_SE_1LDSB0_APM1_AF0EM8_AF1EM1_AMAS0_ASE_ASAE01_ASCE01_ASEM1_BL1_DTLA0_DTLB0_DVO0_EPS1_FL0_GLVWA8_GLVWB8_GRVW8_GSU5_GSUAMB_ISA908_IU1_K1_KLA_LBSPPA0_LBSPPB128_LPA0_LPB8_LDL1_LRVW4_LDW0_MAC_MDA2_MMFGLC_NTC0_NTD0_NEPBS0_NLCA1_NLCB1_ONLL1_OPLV0_PK0_PAP0_PGR1_PLR17_SIA3_SS0_SU0_SUM0_SUS0_SPO0_SRVW4_SSO0_SVW4_SNLL0_TT2_32_TLDS1_UMLDSA0_UMLDSB1_USFGROn1_VAW1_VSn1_VW1_VWB1_WSGRA1_WSGRB1_WG64_4_1_WGM2.kd'
    .language:                   OpenCL C
    .language_version:
      - 2
      - 0
    .args:
      - .name:            Tensor2dSizeA
        .size:            8
        .offset:          0
        .value_kind:      by_value
        .value_type:      u64
      - .name:            Tensor2dSizeB
        .size:            8
        .offset:          8
        .value_kind:      by_value
        .value_type:      u64
      - .name:            AddressD
        .size:            8
        .offset:          16
        .value_kind:      by_value
        .value_type:      u64
      - .name:            AddressC
        .size:            8
        .offset:          24
        .value_kind:      by_value
        .value_type:      u64
      - .name:            AddressA
        .size:            8
        .offset:          32
        .value_kind:      by_value
        .value_type:      u64
      - .name:            AddressB
        .size:            8
        .offset:          40
        .value_kind:      by_value
        .value_type:      u64
      - .name:            Alpha
        .size:            4
        .offset:          48
        .value_kind:      by_value
        .value_type:      u32
      - .name:            Beta
        .size:            4
        .offset:          52
        .value_kind:      by_value
        .value_type:      u32
      - .name:            StridesD
        .size:            8
        .offset:          56
        .value_kind:      by_value
        .value_type:      u64
      - .name:            StridesC
        .size:            8
        .offset:          64
        .value_kind:      by_value
        .value_type:      u64
      - .name:            StridesA
        .size:            8
        .offset:          72
        .value_kind:      by_value
        .value_type:      u64
      - .name:            StridesB
        .size:            8
        .offset:          80
        .value_kind:      by_value
        .value_type:      u64
      - .name:            SizesFree
        .size:            12
        .offset:          88
        .value_kind:      by_value
        .value_type:      u96
      - .name:            SizesSum
        .size:            4
        .offset:          100
        .value_kind:      by_value
        .value_type:      u32
      - .name:            NumWorkGroups0
        .size:            4
        .offset:          104
        .value_kind:      by_value
        .value_type:      u32
      - .name:            NumWorkGroups1
        .size:            4
        .offset:          108
        .value_kind:      by_value
        .value_type:      u32
      - .name:            NumFullBlocks
        .size:            4
        .offset:          112
        .value_kind:      by_value
        .value_type:      u32
      - .name:            WgmRemainder1
        .size:            4
        .offset:          116
        .value_kind:      by_value
        .value_type:      u32
      - .name:            MagicNumberWgmRemainder1
        .size:            4
        .offset:          120
        .value_kind:      by_value
        .value_type:      u32
    .group_segment_fixed_size:   58368
    .kernarg_segment_align:      8
    .kernarg_segment_size:       128
    .max_flat_workgroup_size:    256
    .private_segment_fixed_size: 0
    .sgpr_count:                 66
    .sgpr_spill_count:           0
    .vgpr_count:                 256
    .vgpr_spill_count:           0
    .wavefront_size:             64
...
.end_amdgpu_metadata
Cijk_Ailk_Bljk_BBS_BH_MT128x64x64_MI32x32x4x1_SE_1LDSB0_APM1_AF0EM8_AF1EM1_AMAS0_ASE_ASAE01_ASCE01_ASEM1_BL1_DTLA0_DTLB0_DVO0_EPS1_FL0_GLVWA8_GLVWB8_GRVW8_GSU5_GSUAMB_ISA908_IU1_K1_KLA_LBSPPA0_LBSPPB128_LPA0_LPB8_LDL1_LRVW4_LDW0_MAC_MDA2_MMFGLC_NTC0_NTD0_NEPBS0_NLCA1_NLCB1_ONLL1_OPLV0_PK0_PAP0_PGR1_PLR17_SIA3_SS0_SU0_SUM0_SUS0_SPO0_SRVW4_SSO0_SVW4_SNLL0_TT2_32_TLDS1_UMLDSA0_UMLDSB1_USFGROn1_VAW1_VSn1_VW1_VWB1_WSGRA1_WSGRB1_WG64_4_1_WGM2:

/******************************************/
/* Asm syntax workarounds                 */
/******************************************/
.macro _v_add_co_u32 dst:req, cc:req, src0:req, src1:req, dpp=
   v_add_co_u32 \dst, \cc, \src0, \src1 \dpp
.endm

.macro _v_add_u32 dst:req, src0:req, src1:req, dpp=
   v_add_u32 \dst, \src0, \src1 \dpp
.endm

.macro _v_add_i32 dst:req, src0:req, src1:req, dpp=
   v_add_i32 \dst, \src0, \src1 \dpp
.endm

.macro _v_addc_co_u32 dst:req, ccOut:req, src0:req, ccIn:req, src1:req, dpp=
   v_addc_co_u32 \dst, \ccOut, \src0, \ccIn, \src1 \dpp
.endm

.macro _v_sub_co_u32 dst:req, cc:req, src0:req, src1:req, dpp=
   v_sub_co_u32 \dst, \cc, \src0, \src1 \dpp
.endm

.macro _v_sub_u32 dst:req, src0:req, src1:req, dpp=
   v_sub_u32 \dst, \src0, \src1 \dpp
.endm

.macro _v_sub_i32 dst:req, src0:req, src1:req, dpp=
   v_sub_i32 \dst, \src0, \src1 \dpp
.endm

.macro _v_add_lshl_u32 dst:req, src0:req, src1:req, shiftCnt:req
    v_add_lshl_u32 \dst, \src0, \src1, \shiftCnt
.endm

.macro _v_lshl_add_u32 dst:req, src0:req, src1:req, shiftCnt:req
    v_lshl_add_u32 \dst, \src0, \src1, \shiftCnt
.endm

.macro _v_lshl_or_b32 dst:req, src0:req, shiftCnt:req, src1:req
    v_lshl_or_b32 \dst, \src0, \shiftCnt, \src1
.endm

.macro _v_dot2acc_f32_f16 dst, src0, src1
v_dot2c_f32_f16 \dst, \src0, \src1
.endm

.macro _v_cmpx_lt_i16 dst, src0, src1=
   v_cmpx_lt_i16 \dst, \src0, \src1 
.endm

.macro _v_cmpx_lt_i32 dst, src0, src1=
   v_cmpx_lt_i32 \dst, \src0, \src1 
.endm

.macro _v_cmpx_lt_i64 dst, src0, src1=
   v_cmpx_lt_i64 \dst, \src0, \src1 
.endm

.macro _v_cmpx_lt_u16 dst, src0, src1=
   v_cmpx_lt_u16 \dst, \src0, \src1 
.endm

.macro _v_cmpx_lt_u32 dst, src0, src1=
   v_cmpx_lt_u32 \dst, \src0, \src1 
.endm

.macro _v_cmpx_lt_u64 dst, src0, src1=
   v_cmpx_lt_u64 \dst, \src0, \src1 
.endm

.macro _v_cmpx_eq_i16 dst, src0, src1=
   v_cmpx_eq_i16 \dst, \src0, \src1 
.endm

.macro _v_cmpx_eq_i32 dst, src0, src1=
   v_cmpx_eq_i32 \dst, \src0, \src1 
.endm

.macro _v_cmpx_eq_i64 dst, src0, src1=
   v_cmpx_eq_i64 \dst, \src0, \src1 
.endm

.macro _v_cmpx_eq_u16 dst, src0, src1=
   v_cmpx_eq_u16 \dst, \src0, \src1 
.endm

.macro _v_cmpx_eq_u32 dst, src0, src1=
   v_cmpx_eq_u32 \dst, \src0, \src1 
.endm

.macro _v_cmpx_eq_u64 dst, src0, src1=
   v_cmpx_eq_u64 \dst, \src0, \src1 
.endm

.macro _v_cmpx_le_i16 dst, src0, src1=
   v_cmpx_le_i16 \dst, \src0, \src1 
.endm

.macro _v_cmpx_le_i32 dst, src0, src1=
   v_cmpx_le_i32 \dst, \src0, \src1 
.endm

.macro _v_cmpx_le_i64 dst, src0, src1=
   v_cmpx_le_i64 \dst, \src0, \src1 
.endm

.macro _v_cmpx_le_u16 dst, src0, src1=
   v_cmpx_le_u16 \dst, \src0, \src1 
.endm

.macro _v_cmpx_le_u32 dst, src0, src1=
   v_cmpx_le_u32 \dst, \src0, \src1 
.endm

.macro _v_cmpx_le_u64 dst, src0, src1=
   v_cmpx_le_u64 \dst, \src0, \src1 
.endm

.macro _v_cmpx_gt_i16 dst, src0, src1=
   v_cmpx_gt_i16 \dst, \src0, \src1 
.endm

.macro _v_cmpx_gt_i32 dst, src0, src1=
   v_cmpx_gt_i32 \dst, \src0, \src1 
.endm

.macro _v_cmpx_gt_i64 dst, src0, src1=
   v_cmpx_gt_i64 \dst, \src0, \src1 
.endm

.macro _v_cmpx_gt_u16 dst, src0, src1=
   v_cmpx_gt_u16 \dst, \src0, \src1 
.endm

.macro _v_cmpx_gt_u32 dst, src0, src1=
   v_cmpx_gt_u32 \dst, \src0, \src1 
.endm

.macro _v_cmpx_gt_u64 dst, src0, src1=
   v_cmpx_gt_u64 \dst, \src0, \src1 
.endm

.macro _v_cmpx_ne_i16 dst, src0, src1=
   v_cmpx_ne_i16 \dst, \src0, \src1 
.endm

.macro _v_cmpx_ne_i32 dst, src0, src1=
   v_cmpx_ne_i32 \dst, \src0, \src1 
.endm

.macro _v_cmpx_ne_i64 dst, src0, src1=
   v_cmpx_ne_i64 \dst, \src0, \src1 
.endm

.macro _v_cmpx_ne_u16 dst, src0, src1=
   v_cmpx_ne_u16 \dst, \src0, \src1 
.endm

.macro _v_cmpx_ne_u32 dst, src0, src1=
   v_cmpx_ne_u32 \dst, \src0, \src1 
.endm

.macro _v_cmpx_ne_u64 dst, src0, src1=
   v_cmpx_ne_u64 \dst, \src0, \src1 
.endm

.macro _v_cmpx_lg_i16 dst, src0, src1=
   v_cmpx_lg_i16 \dst, \src0, \src1 
.endm

.macro _v_cmpx_lg_i32 dst, src0, src1=
   v_cmpx_lg_i32 \dst, \src0, \src1 
.endm

.macro _v_cmpx_lg_i64 dst, src0, src1=
   v_cmpx_lg_i64 \dst, \src0, \src1 
.endm

.macro _v_cmpx_lg_u16 dst, src0, src1=
   v_cmpx_lg_u16 \dst, \src0, \src1 
.endm

.macro _v_cmpx_lg_u32 dst, src0, src1=
   v_cmpx_lg_u32 \dst, \src0, \src1 
.endm

.macro _v_cmpx_lg_u64 dst, src0, src1=
   v_cmpx_lg_u64 \dst, \src0, \src1 
.endm

.macro _v_cmpx_ge_i16 dst, src0, src1=
   v_cmpx_ge_i16 \dst, \src0, \src1 
.endm

.macro _v_cmpx_ge_i32 dst, src0, src1=
   v_cmpx_ge_i32 \dst, \src0, \src1 
.endm

.macro _v_cmpx_ge_i64 dst, src0, src1=
   v_cmpx_ge_i64 \dst, \src0, \src1 
.endm

.macro _v_cmpx_ge_u16 dst, src0, src1=
   v_cmpx_ge_u16 \dst, \src0, \src1 
.endm

.macro _v_cmpx_ge_u32 dst, src0, src1=
   v_cmpx_ge_u32 \dst, \src0, \src1 
.endm

.macro _v_cmpx_ge_u64 dst, src0, src1=
   v_cmpx_ge_u64 \dst, \src0, \src1 
.endm

.macro _v_cmpx_o_i16 dst, src0, src1=
   v_cmpx_o_i16 \dst, \src0, \src1 
.endm

.macro _v_cmpx_o_i32 dst, src0, src1=
   v_cmpx_o_i32 \dst, \src0, \src1 
.endm

.macro _v_cmpx_o_i64 dst, src0, src1=
   v_cmpx_o_i64 \dst, \src0, \src1 
.endm

.macro _v_cmpx_o_u16 dst, src0, src1=
   v_cmpx_o_u16 \dst, \src0, \src1 
.endm

.macro _v_cmpx_o_u32 dst, src0, src1=
   v_cmpx_o_u32 \dst, \src0, \src1 
.endm

.macro _v_cmpx_o_u64 dst, src0, src1=
   v_cmpx_o_u64 \dst, \src0, \src1 
.endm

.macro _v_cmpx_u_i16 dst, src0, src1=
   v_cmpx_u_i16 \dst, \src0, \src1 
.endm

.macro _v_cmpx_u_i32 dst, src0, src1=
   v_cmpx_u_i32 \dst, \src0, \src1 
.endm

.macro _v_cmpx_u_i64 dst, src0, src1=
   v_cmpx_u_i64 \dst, \src0, \src1 
.endm

.macro _v_cmpx_u_u16 dst, src0, src1=
   v_cmpx_u_u16 \dst, \src0, \src1 
.endm

.macro _v_cmpx_u_u32 dst, src0, src1=
   v_cmpx_u_u32 \dst, \src0, \src1 
.endm

.macro _v_cmpx_u_u64 dst, src0, src1=
   v_cmpx_u_u64 \dst, \src0, \src1 
.endm
.macro _v_mac_f32 c:req, a:req, b:req
    v_mac_f32 \c, \a, \b
.endmacro

/* scale global load macros */
.macro _s_load_b32 dst base offset
    s_load_dword \dst \base \offset
.endm

.macro _s_load_b64 dst base offset
    s_load_dwordx2 \dst \base \offset
.endm

.macro _s_load_b128 dst base offset
    s_load_dwordx4 \dst \base \offset
.endm

.macro _s_load_b256 dst base offset
    s_load_dwordx8 \dst \base \offset
.endm

.macro _s_load_b512 dst base offset
    s_load_dwordx16 \dst \base \offset
.endm


/* ds operation macros */
.macro _ds_load_u8 dst src offset
    ds_read_u8 \dst \src \offset
.endm

.macro _ds_load_u8_d16_hi dst src offset
    ds_read_u8_d16_hi \dst \src \offset
.endm

.macro _ds_load_u16 dst src offset
    ds_read_u16 \dst \src \offset
.endm

.macro _ds_load_u16_d16_hi dst src offset
    ds_read_u16_d16_hi \dst \src \offset
.endm

.macro _ds_load_b32 dst src offset
    ds_read_b32 \dst \src \offset
.endm

.macro _ds_load_b64 dst src offset
    ds_read_b64 \dst \src \offset
.endm

.macro _ds_load_b128 dst src offset
    ds_read_b128 \dst \src \offset
.endm

.macro _ds_store_b8 dst src offset
    ds_write_b8 \dst \src \offset
.endm

.macro _ds_store_b8_d16_hi dst src offset
    ds_write_b8_d16_hi \dst \src \offset
.endm

.macro _ds_store_b16 dst src offset
    ds_write_b16 \dst \src \offset
.endm

.macro _ds_store_b16_d16_hi dst src offset
    ds_write_b16_d16_hi \dst \src \offset
.endm

.macro _ds_store_b32 dst src offset
    ds_write_b32 \dst \src \offset
.endm

.macro _ds_store_b64 dst src offset
    ds_write_b64 \dst \src \offset
.endm

.macro _ds_store_b128 dst src offset
    ds_write_b128 \dst \src \offset
.endm

.macro _ds_load2_b32 dst src offset1 offset2
    ds_read2_b32 \dst \src \offset1 \offset2
.endm

.macro _ds_load2_b64 dst src offset1 offset2
    ds_read2_b64 \dst \src \offset1 \offset2
.endm

.macro _ds_store2_b32 dst src offset1 offset2
    ds_write2_b32 \dst \src \offset1 \offset2
.endm

.macro _ds_store2_b64 dst src offset1 offset2
    ds_write2_b64 \dst \src \offset1 \offset2
.endm


/* buffer memory operation macros */
.macro _buffer_load_b32 dst voffset base soffset offen ioffset md0 md1 md2
    buffer_load_dword \dst \voffset \base \soffset \offen \ioffset \md0 \md1 \md2
.endm

.macro _buffer_load_b64 dst voffset base soffset offen ioffset md0 md1 md2
    buffer_load_dwordx2 \dst \voffset \base \soffset \offen \ioffset \md0 \md1 \md2
.endm

.macro _buffer_load_b96 dst voffset base soffset offen ioffset md0 md1 md2
    buffer_load_dwordx3 \dst \voffset \base \soffset \offen \ioffset \md0 \md1 \md2
.endm

.macro _buffer_load_b128 dst voffset base soffset offen ioffset md0 md1 md2
    buffer_load_dwordx4 \dst \voffset \base \soffset \offen \ioffset \md0 \md1 \md2
.endm

.macro _buffer_load_d16_b16 dst voffset base soffset offen ioffset md0 md1 md2
    buffer_load_short_d16 \dst \voffset \base \soffset \offen \ioffset \md0 \md1 \md2
.endm

.macro _buffer_load_d16_hi_b16 dst voffset base soffset offen ioffset md0 md1 md2
    buffer_load_short_d16_hi \dst \voffset \base \soffset \offen \ioffset \md0 \md1 \md2
.endm

.macro _buffer_load_d16_u8 dst voffset base soffset offen ioffset md0 md1 md2
    buffer_load_ubyte_d16 \dst \voffset \base \soffset \offen \ioffset \md0 \md1 \md2
.endm

.macro _buffer_load_d16_hi_u8 dst voffset base soffset offen ioffset md0 md1 md2
    buffer_load_ubyte_d16_hi \dst \voffset \base \soffset \offen \ioffset \md0 \md1 \md2
.endm

.macro _buffer_load_u16 dst voffset base soffset offen ioffset md0 md1 md2
    buffer_load_ushort \dst \voffset \base \soffset \offen \ioffset \md0 \md1 \md2
.endm

.macro _buffer_load_b32_dtl voffset base soffset offen ioffset md0 md1 md2
    buffer_load_dword \voffset \base \soffset \offen \ioffset \md0 \md1 \md2
.endm

.macro _buffer_load_b64_dtl voffset base soffset offen ioffset md0 md1 md2
    buffer_load_dwordx2 \voffset \base \soffset \offen \ioffset \md0 \md1 \md2
.endm

.macro _buffer_load_b128_dtl voffset base soffset offen ioffset md0 md1 md2
    buffer_load_dwordx4 \voffset \base \soffset \offen \ioffset \md0 \md1 \md2
.endm

.macro _buffer_load_u16_dtl voffset base soffset offen ioffset md0 md1 md2
    buffer_load_ushort \voffset \base \soffset \offen \ioffset \md0 \md1 \md2
.endm

.macro _buffer_store_b32 src voffset base soffset offen ioffset md0 md1 md2
    buffer_store_dword \src \voffset \base \soffset \offen \ioffset \md0 \md1 \md2
.endm

.macro _buffer_store_b64 src voffset base soffset offen ioffset md0 md1 md2
    buffer_store_dwordx2 \src \voffset \base \soffset \offen \ioffset \md0 \md1 \md2
.endm

.macro _buffer_store_b96 src voffset base soffset offen ioffset md0 md1 md2
    buffer_store_dwordx3 \src \voffset \base \soffset \offen \ioffset \md0 \md1 \md2
.endm

.macro _buffer_store_b128 src voffset base soffset offen ioffset md0 md1 md2
    buffer_store_dwordx4 \src \voffset \base \soffset \offen \ioffset \md0 \md1 \md2
.endm

.macro _buffer_store_b16 src voffset base soffset offen ioffset md0 md1 md2
    buffer_store_short \src \voffset \base \soffset \offen \ioffset \md0 \md1 \md2
.endm

.macro _buffer_store_d16_hi_b16 src voffset base soffset offen ioffset md0 md1 md2
    buffer_store_short_d16_hi \src \voffset \base \soffset \offen \ioffset \md0 \md1 \md2
.endm

.macro _buffer_store_b8 src voffset base soffset offen ioffset md0 md1 md2
    buffer_store_byte \src \voffset \base \soffset \offen \ioffset \md0 \md1 \md2
.endm

.macro _buffer_store_d16_hi_b8 src voffset base soffset offen ioffset md0 md1 md2
    buffer_store_byte_d16_hi \src \voffset \base \soffset \offen \ioffset \md0 \md1 \md2
.endm

.macro _buffer_atomic_cmpswap_b32 dst voffset base soffset offen ioffset md0 md1 md2
    buffer_atomic_cmpswap \dst \voffset \base \soffset \offen \ioffset \md0 \md1 \md2
.endm

.macro _buffer_atomic_cmpswap_b64 dst voffset base soffset offen ioffset md0 md1 md2
    buffer_atomic_cmpswap_x2 \dst \voffset \base \soffset \offen \ioffset \md0 \md1 \md2
.endm


/* buffer memory operation macros */
.macro _global_load_b32 dst base src ioffset md0 md1 md2
    global_load_dword \dst \base \src \ioffset \md0 \md1 \md2
.endm

.macro _global_load_b64 dst base src ioffset md0 md1 md2
    global_load_dwordx2 \dst \base \src \ioffset \md0 \md1 \md2
.endm

.macro _global_load_b96 dst base src ioffset md0 md1 md2
    global_load_dwordx3 \dst \base \src \ioffset \md0 \md1 \md2
.endm

.macro _global_load_b128 dst base src ioffset md0 md1 md2
    global_load_dwordx4 \dst \base \src \ioffset \md0 \md1 \md2
.endm

.macro _global_load_d16_b16 dst base src ioffset md0 md1 md2
    global_load_short_d16 \dst \base \src \ioffset \md0 \md1 \md2
.endm

.macro _global_load_d16_hi_b16 dst base src ioffset md0 md1 md2
    global_load_short_d16_hi \dst \base \src \ioffset \md0 \md1 \md2
.endm

.macro _global_load_d16_u8 dst base src ioffset md0 md1 md2
    global_load_ubyte_d16 \dst \base \src \ioffset \md0 \md1 \md2
.endm

.macro _global_load_d16_hi_u8 dst base src ioffset md0 md1 md2
    global_load_ubyte_d16_hi \dst \base \src \ioffset \md0 \md1 \md2
.endm

.macro _global_load_u16 dst base src ioffset md0 md1 md2
    global_load_ushort \dst \base \src \ioffset \md0 \md1 \md2
.endm

.macro _global_store_b32 base src src2 md0 md1 md2
    global_store_dword \base \src \src2 \md0 \md1 \md2
.endm

.macro _global_store_b64 base src src2 md0 md1 md2
    global_store_dwordx2 \base \src \src2 \md0 \md1 \md2
.endm

.macro _global_store_b96 base src src2 md0 md1 md2
    global_store_dwordx3 \base \src \src2 \md0 \md1 \md2
.endm

.macro _global_store_b128 base src src2 md0 md1 md2
    global_store_dwordx4 \base \src \src2 \md0 \md1 \md2
.endm

.macro _global_store_d16_b16 base src src2 md0 md1 md2
    global_store_short \base \src \src2 \md0 \md1 \md2
.endm

.macro _global_store_d16_hi_b16 base src src2 md0 md1 md2
    global_store_short_d16_hi \base \src \src2 \md0 \md1 \md2
.endm

.macro _global_store_d16_u8 base src src2 md0 md1 md2
    global_store_ubyte_d16 \base \src \src2 \md0 \md1 \md2
.endm

.macro _global_store_d16_hi_u8 base src src2 md0 md1 md2
    global_store_ubyte_d16_hi \base \src \src2 \md0 \md1 \md2
.endm

.macro _global_store_u16 base src src2 md0 md1 md2
    global_store_ushort \base \src \src2 \md0 \md1 \md2
.endm

.macro _global_atomic_cmpswap_b32 tmp base data src ioffset md
    global_atomic_cmpswap \tmp \base \data \src \ioffset \md
.endm

.macro _global_atomic_cmpswap_b64 tmp base data src ioffset md
    global_atomic_cmpswap_x2 \tmp \base \data \src \ioffset \md
.endm


/******************************************/
/* Magic div and mod functions            */
/******************************************/
.macro V_MAGIC_DIV dstIdx:req, dividend:req, magicNumber:req, magicShift:req, magicA:req
    v_mul_hi_u32 v[\dstIdx+1], \dividend, \magicNumber
    v_mul_lo_u32 v[\dstIdx+0], \dividend, \magicA
    _v_add_u32 v[\dstIdx+0], v[\dstIdx+0], v[\dstIdx+1]
    v_lshrrev_b32 v[\dstIdx+0], \magicShift, v[\dstIdx+0]
.endm

/******************************************/
/* VGPR Assignments                       */
/******************************************/
/* ValuC range: [0-0), serializedStore enabled */
.set vgprValuC, 0
/* ValuA/B   Xn=PLR buffer idx,  In=InnerUnroll idx */
.set vgprValuA_X0_I0, 0
.set vgprValuA_X1_I0, 2
.set vgprValuA_X2_I0, 4
.set vgprValuA_X3_I0, 6
.set vgprValuA_X4_I0, 8
.set vgprValuA_X5_I0, 10
.set vgprValuA_X6_I0, 12
.set vgprValuA_X7_I0, 14
.set vgprValuA_X8_I0, 16
.set vgprValuA_X9_I0, 18
.set vgprValuA_X10_I0, 20
.set vgprValuA_X11_I0, 22
.set vgprValuA_X12_I0, 24
.set vgprValuA_X13_I0, 26
.set vgprValuA_X14_I0, 28
.set vgprValuA_X15_I0, 30
.set vgprG2LA, 52
.set vgprValuB_X0_I0, 32
.set vgprValuB_X1_I0, 33
.set vgprValuB_X2_I0, 34
.set vgprValuB_X3_I0, 35
.set vgprValuB_X4_I0, 36
.set vgprValuB_X5_I0, 37
.set vgprValuB_X6_I0, 38
.set vgprValuB_X7_I0, 39
.set vgprValuB_X8_I0, 40
.set vgprValuB_X9_I0, 41
.set vgprValuB_X10_I0, 42
.set vgprValuB_X11_I0, 43
.set vgprValuB_X12_I0, 44
.set vgprValuB_X13_I0, 45
.set vgprValuB_X14_I0, 46
.set vgprValuB_X15_I0, 47
.set vgprG2LB, 68
.set vgprLocalWriteAddrA, 48
.set vgprLocalWriteAddrB, 49
.set vgprGlobalReadOffsetA, 50
.set vgprGlobalReadOffsetB, 51
.set vgprLocalReadAddrA, 76
.set vgprLocalReadAddrB, 77
.set vgprSerial, 78
/* Num VGPR=256 */
/* Num AccVGPR=32 */

/******************************************/
/* SGPR Assignments                       */
/******************************************/
.set sgprKernArgAddress, 0 // (2)
.set sgprWorkGroup0, 2 // (1)
.set sgprWorkGroup1, 3 // (1)
.set sgprWorkGroup2, 4 // (1)
.set sgprGSUSumIdx, 5 // (2)
.set sgprLoopCounterL, 7 // (1)
.set sgprOrigLoopCounter, 8 // (1)
.set sgprSrdA, 12 // (4)
.set sgprSrdB, 16 // (4)
.set sgprSrdD, 20 // (4)
.set sgprSrdC, 24 // (4)
.set sgprTensor2dSizeA, 28 // (2)
.set sgprTensor2dSizeB, 30 // (2)
.set sgprAddressD, 32 // (2)
.set sgprAddressC, 34 // (2)
.set sgprAddressA, 36 // (2)
.set sgprAddressB, 38 // (2)
.set sgprAlpha, 40 // (1)
.set sgprBeta, 41 // (1)
.set sgprStridesD, 42 // (2)
.set sgprStridesC, 44 // (2)
.set sgprStridesA, 46 // (2)
.set sgprStridesB, 48 // (2)
.set sgprSizesFree, 50 // (3)
.set sgprSizesSum, 53 // (1)
.set sgprNumWorkGroups0, 54 // (1)
.set sgprNumWorkGroups1, 55 // (1)
.set sgprNumFullBlocks, 56 // (1)
.set sgprWgmRemainder1, 57 // (1)
.set sgprMagicNumberWgmRemainder1, 58 // (1)
.set sgprShadowLimitA, 0 // (2)
.set sgprShadowLimitB, 32 // (2)
.set sgprGlobalReadIncsA, 9 // (1)
.set sgprGlobalReadIncsB, 34 // (1)
.set sgprScalarGlobalReadOffsetA, 35 // (3)
.set sgprScalarGlobalReadOffsetB, 38 // (1)
/* max SGPR=66 */

/* Size Assignments */
.set sgprSizeI, sgprSizesFree+0
.set sgprSizeJ, sgprSizesFree+1
.set sgprSizeK, sgprSizesFree+2
.set sgprSizeL, sgprSizesSum+0

/* Stride Assignments */
.set constStrideD0I, 1
.set sgprStrideD1J, sgprStridesD+0
.set sgprStrideDK, sgprStridesD+1
.set constStrideC0I, 1
.set sgprStrideC1J, sgprStridesC+0
.set sgprStrideCK, sgprStridesC+1
.set constStrideA0I, 1
.set sgprStrideAL, sgprStridesA+0
.set sgprStrideAK, sgprStridesA+1
.set constStrideBL, 1
.set sgprStrideB1J, sgprStridesB+0
.set sgprStrideBK, sgprStridesB+1

.set MT0, 128
.set MT1, 64
.set DepthU, 64
.set GSU, 5
.set BpeA, 2
.set BpeALog2, 1
.set BpeB, 2
.set BpeBLog2, 1
/* Number of elements to shift-left SRD */
.set SrdShiftLeftA, 8
.set SrdShiftLeftB, 8
/* 2GB limit - set offsets to -1 to exceed this and clamp */
.set BufferLimitA, 0xffffffff
.set BufferLimitB, 0xffffffff
.set BufferOOB, 0xfffff000

/******************************************/
/* Bits 127:96 of SRD.                    */
/* hex: 0x00020000                        */
/* dst_sel_x (3b): 0                      */
/* dst_sel_y (3b): 0                      */
/* dst_sel_z (3b): 0                      */
/* dst_sel_w (3b): 0                      */
/* num_format (3b): 0                     */
/* data_format (4b): 4                    */
/* user_vm_enable (1b): 0                 */
/* user_vm_mode (1b): 0                   */
/* index_stride (2b): 0                   */
/* add_tid_enable (1b): 0                 */
/* _unusedA (3b): 0                       */
/* nv (1b): 0                             */
/* _unusedB (2b): 0                       */
/* type (2b): 0                           */
/******************************************/
.set Srd127_96, 0x00020000

/* Global Offset A */
.macro GLOBAL_OFFSET_A vgprAddr:req vgprOffset0I:req vgprOffsetL:req vgprTmp:req
v_mul_lo_u32 v[\vgprTmp+0], s[sgprStrideAL], v[\vgprOffsetL] // mul d1 lower
_v_add_co_u32 v[\vgprAddr+0], vcc, v[\vgprOffset0I], v[\vgprTmp+0] // accumulate K lower
_v_add_u32 v[\vgprAddr+0], 0x8, v[\vgprAddr+0]     // add prepad for pointer shift
v_lshlrev_b32 v[\vgprAddr+0], 0x1, v[\vgprAddr+0]  // offset *= bytes/element
.endm

/* Global Offset B */
.macro GLOBAL_OFFSET_B vgprAddr:req vgprOffsetL:req vgprOffset1J:req vgprTmp:req
v_mul_lo_u32 v[\vgprTmp+0], s[sgprStrideB1J], v[\vgprOffset1J] // mul d1 lower
_v_add_co_u32 v[\vgprAddr+0], vcc, v[\vgprOffsetL], v[\vgprTmp+0] // accumulate K lower
_v_add_u32 v[\vgprAddr+0], 0x8, v[\vgprAddr+0]     // add prepad for pointer shift
v_lshlrev_b32 v[\vgprAddr+0], 0x1, v[\vgprAddr+0]  // offset *= bytes/element
.endm

/******************************************/
/* Dynamic Scalar Divide: vQuotient=vDividend/vDivisor; vRemainder=vDividend%vDivisor; */
/******************************************/
.macro DYNAMIC_VECTOR_DIVIDE vQuotient vRemainder vDividend vDivisor vTmp0 vTmp1 sTmp
v_cvt_f32_u32 v[\vQuotient], v[\vDivisor]          // 
v_rcp_f32 v[\vQuotient], v[\vQuotient]             // 
v_mul_f32 v[\vQuotient], 0x4f800000, v[\vQuotient] // 
v_cvt_u32_f32 v[\vQuotient], v[\vQuotient]         // 
v_mul_lo_u32 v[\vRemainder], v[\vDivisor], v[\vQuotient] // 
v_mul_hi_u32 v[\vTmp0], v[\vDivisor], v[\vQuotient] // 
_v_sub_co_u32 v[\vTmp1], vcc, 0x0, v[\vRemainder]  // 
v_cmp_ne_i32 s[\sTmp:\sTmp+1], 0x0, v[\vTmp0]      // 
v_cndmask_b32 v[\vRemainder], v[\vTmp1], v[\vRemainder], s[\sTmp:\sTmp+1] // 
v_mul_hi_u32 v[\vRemainder], v[\vRemainder], v[\vQuotient] // 
_v_sub_co_u32 v[\vTmp0], vcc, v[\vQuotient], v[\vRemainder] // 
_v_add_co_u32 v[\vQuotient], vcc, v[\vQuotient], v[\vRemainder] // 
v_cndmask_b32 v[\vQuotient], v[\vQuotient], v[\vTmp0], s[\sTmp:\sTmp+1] // 
v_mul_hi_u32 v[\vQuotient], v[\vQuotient], v[\vDividend] // 
v_mul_lo_u32 v[\vRemainder], v[\vQuotient], v[\vDivisor] // 
_v_sub_co_u32 v[\vTmp0], vcc, v[\vDividend], v[\vRemainder] // 
v_cmp_ge_u32 s[\sTmp:\sTmp+1], v[\vDividend], v[\vRemainder] // 
_v_add_co_u32 v[\vRemainder], vcc, 0x1, v[\vQuotient] // 
_v_add_co_u32 v[\vTmp1], vcc, -1, v[\vQuotient]    // 
v_cmp_le_u32 vcc, v[\vDivisor], v[\vTmp0]          // 
s_and_b64 vcc, s[\sTmp:\sTmp+1], vcc               // 
v_cndmask_b32 v[\vQuotient], v[\vQuotient], v[\vRemainder], vcc // 
v_cndmask_b32 v[\vQuotient], v[\vTmp1], v[\vQuotient], s[\sTmp:\sTmp+1] // 
v_cmp_ne_i32 vcc, 0x0, v[\vDivisor]                // 
v_cndmask_b32 v[\vQuotient], -1, v[\vQuotient], vcc // final result
v_mul_lo_u32 v[\vRemainder], v[\vQuotient], v[\vDivisor] // 
_v_sub_co_u32 v[\vRemainder], vcc, v[\vDividend], v[\vRemainder] // final result
.endm


	;; [unrolled: 1-line block ×3, first 2 shown]
/******************************************/
/* Allocate Resources                     */
/******************************************/

Cijk_Ailk_Bljk_BBS_BH_MT128x64x64_MI32x32x4x1_SE_1LDSB0_APM1_AF0EM8_AF1EM1_AMAS0_ASE_ASAE01_ASCE01_ASEM1_BL1_DTLA0_DTLB0_DVO0_EPS1_FL0_GLVWA8_GLVWB8_GRVW8_GSU5_GSUAMB_ISA908_IU1_K1_KLA_LBSPPA0_LBSPPB128_LPA0_LPB8_LDL1_LRVW4_LDW0_MAC_MDA2_MMFGLC_NTC0_NTD0_NEPBS0_NLCA1_NLCB1_ONLL1_OPLV0_PK0_PAP0_PGR1_PLR17_SIA3_SS0_SU0_SUM0_SUS0_SPO0_SRVW4_SSO0_SVW4_SNLL0_TT2_32_TLDS1_UMLDSA0_UMLDSB1_USFGROn1_VAW1_VSn1_VW1_VWB1_WSGRA1_WSGRB1_WG64_4_1_WGM2_preloaded: // Kernel start when preloading

/* Load Kernel Args */
_s_load_b512 s[28:43], s[sgprKernArgAddress:sgprKernArgAddress+1], 0x0 // 
_s_load_b256 s[44:51], s[sgprKernArgAddress:sgprKernArgAddress+1], 0x40 // 
_s_load_b128 s[52:55], s[sgprKernArgAddress:sgprKernArgAddress+1], 0x60 // 
_s_load_b64 s[56:57], s[sgprKernArgAddress:sgprKernArgAddress+1], 0x70 // 
_s_load_b32 s58, s[sgprKernArgAddress:sgprKernArgAddress+1], 0x78 // 
s_mov_b32 m0, 0xe400                               // LDS clamp at 58368 bytes
v_mov_b32 v[vgprSerial], v0                        // thread serial id

/******************************************/
/* Local Read Addresses                   */
/******************************************/


/* local read addresses: tile assignments a/b */

/*lr0I*/
v_and_b32 v1, 63, v[vgprSerial]                    // 0. thread id in wave: wtid = tid % wavelength(64)
v_and_b32 v0, 31, v1                               // 1. N offset: nIdx = wtid % MI_N(32)
                                                   // 1. N offset: nOffset = nIdx * nStride(1) (multiplier is 1, do nothing)
                                                   // 2. block offset: bnIdx = bnIdx % num1DBlocks(1) is 0. do nothing
                                                   // 4. apply VectorWidth: bnOffset = bnOffset * vw(1) (multiplier is 1, do nothing)
v_lshrrev_b32 v1, 5, v1                            // 5. K offset: kIdx = wtid / (MIN(32) * MIBB(1))
v_lshlrev_b32 v1, 0x9, v1                          // 5. K offset: lrKOffset = kIdx * mStride(512)
_v_add_u32 v0, v1, v0                              // 6. offset in wave: lrOffset = bnOffset + lrKOffset
v_lshrrev_b32 v2, 6, v[vgprSerial]                 // 7. wave offset in N dimen: wtid = tid / dividedForWaveId(64)
v_and_b32 v1, 1, v2                                // 7. wave offset in M dimen: wtid0 = wtid / num1DWaves(2)
v_lshlrev_b32 v1, 0x5, v1                          // 7. wave offset in M dimen: wOffset = wtid0 * W0Stride(32)
_v_add_u32 v0, v1, v0                              // 8. final local read offset: flrOffset = lrOffset + WOffset
/*lr1J*/
v_and_b32 v2, 63, v[vgprSerial]                    // 0. thread id in wave: wtid = tid % wavelength(64)
v_and_b32 v1, 31, v2                               // 1. N offset: nIdx = wtid % MI_N(32)
v_lshlrev_b32 v1, 0x6, v1                          // 1. N offset: nOffset = nIdx * nStride(64)
                                                   // 2. block offset: bnIdx = bnIdx % num1DBlocks(1) is 0. do nothing
                                                   // 4. apply VectorWidth: bnOffset = bnOffset * vw(1) (multiplier is 1, do nothing)
v_lshrrev_b32 v2, 5, v2                            // 5. K offset: kIdx = wtid / (MIN(32) * MIBB(1))
v_lshlrev_b32 v2, 0x2, v2                          // 5. K offset: lrKOffset = kIdx * mStride(4)
_v_add_u32 v1, v2, v1                              // 6. offset in wave: lrOffset = bnOffset + lrKOffset
v_lshrrev_b32 v3, 7, v[vgprSerial]                 // 7. wave offset in N dimen: wtid = tid / dividedForWaveId(128)
v_and_b32 v2, 1, v3                                // 7. wave offset in M dimen: wtid0 = wtid / num1DWaves(2)
v_lshlrev_b32 v2, 0xb, v2                          // 7. wave offset in M dimen: wOffset = wtid0 * W0Stride(2048)
_v_add_u32 v1, v2, v1                              // 8. final local read offset: flrOffset = lrOffset + WOffset


/* local read addresses: final offsets a */

v_lshlrev_b32 v[vgprLocalReadAddrA], 0x1, v0       // Final Offset: offset = (lro0)*bpe


/* local read addresses: final offsets b */

v_lshlrev_b32 v[vgprLocalReadAddrB], 0x1, v1       // Final Offset: offset = (lro1)*bpe
v_lshrrev_b32 v0, 7, v[vgprLocalReadAddrB]         // Final Offset: padding 8 per block 128
v_lshlrev_b32 v0, 0x4, v0                          // Final Offset: padding 8 per block 128
_v_add_u32 v[vgprLocalReadAddrB], v0, v[vgprLocalReadAddrB] // Final Offset: add padding 8 per block 128


/* local read addresses: declare addresses a */

/* N/A */


/* local read addresses: declare addresses b */

_v_add_co_u32 v[vgprLocalReadAddrB+0], vcc, 0x4000, v[vgprLocalReadAddrB+0] //  += LdsOffsetB (lower)


/* global read addresses: tile offset assignment a */

/* LVCA = 16 */
/* v0 = (local)groA-tile = serial%LVCA (note (wgA*MTA) will be added to SRD) */
/* v1 = groA-unroll = serial/LVCA */
v_and_b32 v2, 63, v[vgprSerial]                    // v2 = v[vgprSerial] % 64
v_lshrrev_b32 v1, 4, v2                            // v1 = v2 / 16
v_and_b32 v0, 15, v2                               // v0 = v2 % 16
v_readfirstlane_b32 s10, v[vgprSerial]             // WaveIdxWavefrontWidth
s_lshr_b32 s10, s10, 0x6                           // WaveId
s_mul_i32 s10, s10, 16                             // Global Read Wave: each wave loads continuous lsp(4)*nrp(4) columns
_v_add_u32 v1, s10, v1                             // Global Read Wave: add back to column index
/* gro-tile *= glvw */
v_lshlrev_b32 v0, 0x3, v0                          // v0 = v0 * 8
v_mov_b32 v2, v1                                   // copy for GlobalSplitU


/* global read addresses: tile offset assignment b */

/* LVCB = 8 */
/* v3 = (local)groB-tile = serial/LVCB (note (wgB*MTB) will be added to SRD) */
/* v4 = groB-unroll = serial%LVCB */
v_and_b32 v5, 63, v[vgprSerial]                    // v5 = v[vgprSerial] % 64
v_lshrrev_b32 v3, 3, v5                            // v3 = v5 / 8
v_and_b32 v4, 7, v5                                // v4 = v5 % 8
v_readfirstlane_b32 s10, v[vgprSerial]             // WaveIdxWavefrontWidth
s_lshr_b32 s10, s10, 0x6                           // WaveId
s_mul_i32 s10, s10, 16                             // Global Read Wave: each wave loads continuous lsp(8)*nrp(2) columns
_v_add_u32 v3, s10, v3                             // Global Read Wave: add back to column index
/* gro-unroll *= glvw */
v_lshlrev_b32 v4, 0x3, v4                          // v4 = v4 * 8
v_mov_b32 v5, v4                                   // copy for GlobalSplitU


/******************************************/
/* Local Write Addresses                  */
/******************************************/

/* lwaTileAssignmentA = v0 */

/* lwaTileAssignmentB = v3 */

/* lwaUnrollAssignmentA = v2 */

/* lwaUnrollAssignmentB = v5 */


/* local write addresses: first offset a */

v_mul_u32_u24 v[vgprLocalWriteAddrA], 0x80, v2     // lwAL**(MTA + PAD)
_v_add_lshl_u32 v[vgprLocalWriteAddrA], v0, v[vgprLocalWriteAddrA], 0x1 // lwFOA = (lwAA + lwAL*(MT0I+PAD))*bpe


/* local write addresses: first offset b */

v_mul_u32_u24 v[vgprLocalWriteAddrB], 0x40, v3     // lwBL**(DepthU_Compute + PAD)
_v_add_lshl_u32 v[vgprLocalWriteAddrB], v5, v[vgprLocalWriteAddrB], 0x1 // lwFOB = (lwBB + lwBL*(DepthU+PAD))*bpe
v_lshrrev_b32 v6, 7, v[vgprLocalWriteAddrB]        // padding 8 per block 128
v_lshlrev_b32 v6, 0x4, v6                          // padding 8 per block 128
_v_add_u32 v[vgprLocalWriteAddrB], v6, v[vgprLocalWriteAddrB] // add padding 8 per block 128
_v_add_co_u32 v[vgprLocalWriteAddrB], vcc, 0x4000, v[vgprLocalWriteAddrB] // lwFOB = lwB1J + lwBL*MT1J + LDS_OFFSET_B=8192*2


	;; [unrolled: 1-line block ×7, first 2 shown]
s_waitcnt lgkmcnt(0)                               // wait for 124 bytes of kern args
s_mov_b64 s[sgprSrdC+0:sgprSrdC+0+1], s[sgprAddressC+0:sgprAddressC+0+1] // copy addressC
s_mov_b64 s[sgprSrdD+0:sgprSrdD+0+1], s[sgprAddressD+0:sgprAddressD+0+1] // copy addressD
s_sub_u32 s[sgprSrdA+0], s[sgprAddressA+0], 16     // pre-pad to make room for possible pointer shift
s_subb_u32 s[sgprSrdA+1], s[sgprAddressA+1], 0     // pre-pad to make room for possible pointer shift
s_sub_u32 s[sgprSrdB+0], s[sgprAddressB+0], 16     // pre-pad to make room for possible pointer shift
s_subb_u32 s[sgprSrdB+1], s[sgprAddressB+1], 0     // pre-pad to make room for possible pointer shift

.set AddressD, UNDEF
.set AddressC, UNDEF
.set AddressA, UNDEF
.set AddressB, UNDEF

/* Short circuit condition if Alpha == 0, then sumDims=0 */
v_cmp_eq_f32 vcc, s[sgprAlpha], 0.0                // Alpha == 0.0f ?
s_cbranch_vccz label_AlphaNonZero                  // branch if alpha != 0
s_mov_b32 s[sgprSizesSum+0], 0x0                   // Set summation dim=0 if Alpha == 0
label_AlphaNonZero:


	;; [unrolled: 1-line block ×3, first 2 shown]
/******************************************/
/* Begin setupNewTile, isPap=False           */
/******************************************/


/* global read addresses: work-group */

/* graWorkGroup mapping */
// GSU-not-WGMapRR :nwg1 = (size1J + MT1J - 1) / MT1J;
s_mov_b32 s62, s[sgprWorkGroup1]                   // copying for divisor
s_mov_b32 s61, 0x0                                 // STATIC_DIV: divisior=5
s_mul_i32 s60, 0x6666, s62                         // tmp1 = dividend * magic hi
s_lshl_b64 s[60:61], s[60:61], 0x10                // left shift 16 bits
s_mul_i32 s[sgprWorkGroup1], s62, 0x6667           // tmp0 = dividend * magic lo
s_add_u32 s60, s[sgprWorkGroup1], s60              // add lo
s_addc_u32 s61, s61, 0x0                           // add hi
s_lshr_b64 s[60:61], s[60:61], 0x21                // tmp1 = (dividend * magic) << shift
s_mov_b32 s[sgprWorkGroup1], s60                   // quotient
s_mul_i32 s60, s[sgprWorkGroup1], 0x5              // quotient*divisor
s_sub_u32 s[sgprGSUSumIdx], s62, s60               // rReg = dividend - quotient*divisor
s_mov_b32 s63, 0x40000001L                         // magic number for WGM==2
s_mul_hi_u32 s61, s[sgprWorkGroup1], s63           // s_magic mul
s_mul_i32 s60, s[sgprWorkGroup1], s63              // s_magic mul
s_lshr_b64 s[60:61], s[60:61], 31                  // sMagicDiv
s_mul_i32 s61, s60, 2                              // quotient * non-magic divisor
s_sub_u32 s61, s[sgprWorkGroup1], s61              // WorkGroup1=remainder
s_mul_i32 s61, s61, s[sgprNumWorkGroups0]          // (wg1 % WGM)*nwg0
s_add_u32 s61, s61, s[sgprWorkGroup0]              // wgSerial = wg0 + (wg1 % WGM)*nwg1
s_cmp_ge_u32 s60, s[sgprNumFullBlocks]             // blockId >= numFullBlocks ?
s_cmov_b32 s63, s[sgprMagicNumberWgmRemainder1]    // 
s_cselect_b32 s62, s[sgprWgmRemainder1], 2         // 
s_mul_hi_u32 s3, s61, s63                          // s_magic mul
s_mul_i32 s2, s61, s63                             // s_magic mul
s_lshr_b64 s[2:3], s[2:3], 31                      // sMagicDiv
s_mul_i32 s[sgprWorkGroup1], s[sgprWorkGroup0], s62 // quotient * non-magic divisor
s_sub_u32 s[sgprWorkGroup1], s61, s[sgprWorkGroup1] // WorkGroup1=remainder
s_mul_i32 s60, s60, 2                              // blockId * WGM
s_add_u32 s[sgprWorkGroup1], s[sgprWorkGroup1], s60 // wg1 += blockId * WGM


/* global read addresses: unroll assignment a */

/* v1 */


/* global read addresses: unroll assignment b */

/* v4 */


/* global read addresses: other free assignments */

/* s[sgprWorkGroup2] */


/* global read addresses: tile offsets a */


	;; [unrolled: 1-line block ×3, first 2 shown]
/* global read addresses: tile offsets b */


	;; [unrolled: 1-line block ×3, first 2 shown]
/* global read addresses: unroll offsets a */


	;; [unrolled: 1-line block ×3, first 2 shown]
/* global read addresses: unroll offsets b */


	;; [unrolled: 1-line block ×3, first 2 shown]
/* global read addresses: final offsets a */

GLOBAL_OFFSET_A vgprGlobalReadOffsetA+0,  0,  1, 6 // gROA_0_0_0_0
s_mul_i32 s[sgprScalarGlobalReadOffsetA+0], s[sgprStrideAL], 4 // compute offset diff (scaled unrollDim)
s_lshl_b32 s[sgprScalarGlobalReadOffsetA+0], s[sgprScalarGlobalReadOffsetA+0], 0x1 // scalar offset *= bytes/element
s_mul_i32 s[sgprScalarGlobalReadOffsetA+1], s[sgprStrideAL], 8 // compute offset diff (scaled unrollDim)
s_lshl_b32 s[sgprScalarGlobalReadOffsetA+1], s[sgprScalarGlobalReadOffsetA+1], 0x1 // scalar offset *= bytes/element
	;; [unrolled: 2-line block ×3, first 2 shown]


/* global read addresses: final offsets b */

GLOBAL_OFFSET_B vgprGlobalReadOffsetB+0,  4,  3, 6 // gROB_0_0_0_0
s_mul_i32 s[sgprScalarGlobalReadOffsetB+0], s[sgprStrideB1J], 8 // compute offset diff (scaled tileDim)
s_lshl_b32 s[sgprScalarGlobalReadOffsetB+0], s[sgprScalarGlobalReadOffsetB+0], 0x1 // scalar offset *= bytes/element


/* global read addresses: addresses a */

/* max read offset = size[n] * stride[n-1] */
s_mul_hi_u32 s63, s[sgprWorkGroup0], 128           // WorkGroup[01] * MT
s_mul_i32 s62, s[sgprWorkGroup0], 128              // WorkGroup[01] * MT
s_mul_hi_u32 s61, 64, s[sgprGSUSumIdx]             // gsuOffset = DepthU*bpe*GSUSumIdx
s_mul_i32 s60, 64, s[sgprGSUSumIdx]                // gsuOffset = DepthU*bpe*GSUSumIdx
s_mul_hi_u32 s61, s60, s[sgprStrideAL]             // tlu=1, scaled unroll-offset by stride
s_mul_i32 s60, s60, s[sgprStrideAL]                // tlu=1, scaled unroll-offset by stride
s_add_u32 s62, s62, s60                            // accum GsuOffset term to tilestart
s_addc_u32 s63, s63, s61                           // accum GsuOffset term to tilestart
s_sub_u32 s[sgprShadowLimitA+0], s[sgprTensor2dSizeA], s62 // sub tileStart
s_subb_u32 s[sgprShadowLimitA+1], s[sgprTensor2dSizeA+1], s63 // sub tileStart
s_lshl_b64 s[sgprShadowLimitA:sgprShadowLimitA+1], s[sgprShadowLimitA:sgprShadowLimitA+1], 0x1 // Set limit to use bytes
s_add_u32 s[sgprShadowLimitA+0], s[sgprShadowLimitA+0], 16 // extend limit for pre-pad
s_addc_u32 s[sgprShadowLimitA+1], s[sgprShadowLimitA+1], 0 // extend limit for pre-pad
s_cmp_eq_u32 s[sgprShadowLimitA+1], 0              // are we within 2^32?
s_cselect_b32 s[sgprSrdA+2], s[sgprShadowLimitA+0], BufferLimitA // Move shadow to real if we are within 2^32
s_mul_hi_u32 s61, s[sgprStrideAK], s[sgprWorkGroup2] // Stride*WG
s_mul_i32 s60, s[sgprStrideAK], s[sgprWorkGroup2]  // Stride*WG
s_add_u32 s62, s62, s60                            // accum wg term to tilestart
s_addc_u32 s63, s63, s61                           // accum wg term to tilestart
s_lshl_b64 s[62:63], s[62:63], 0x1                 // tileStart *= BPE
s_add_u32 s[sgprSrdA+0], s[sgprSrdA+0], s62        // SRD base = Address+ tileStart0
s_addc_u32 s[sgprSrdA+1], s[sgprSrdA+1], s63       // SRD base = Address+ tileStart1
s_mov_b32 s[sgprSrdA+3], Srd127_96                 // Set bits 127_96 in SRD


/* global read addresses: addresses b */

/* max read offset = size[n] * stride[n-1] */
s_mul_hi_u32 s63, s[sgprWorkGroup1], 64            // WorkGroup[01] * MT
s_mul_i32 s62, s[sgprWorkGroup1], 64               // WorkGroup[01] * MT
s_mul_hi_u32 s63, s62, s[sgprStrideB1J]            // tlu=0, scaled tile-offset by stride
s_mul_i32 s62, s62, s[sgprStrideB1J]               // tlu=0, scaled tile-offset by stride
s_mul_hi_u32 s61, 64, s[sgprGSUSumIdx]             // gsuOffset = DepthU*bpe*GSUSumIdx
s_mul_i32 s60, 64, s[sgprGSUSumIdx]                // gsuOffset = DepthU*bpe*GSUSumIdx
s_add_u32 s62, s62, s60                            // accum GsuOffset term to tilestart
s_addc_u32 s63, s63, s61                           // accum GsuOffset term to tilestart
s_sub_u32 s[sgprShadowLimitB+0], s[sgprTensor2dSizeB], s62 // sub tileStart
s_subb_u32 s[sgprShadowLimitB+1], s[sgprTensor2dSizeB+1], s63 // sub tileStart
s_lshl_b64 s[sgprShadowLimitB:sgprShadowLimitB+1], s[sgprShadowLimitB:sgprShadowLimitB+1], 0x1 // Set limit to use bytes
s_add_u32 s[sgprShadowLimitB+0], s[sgprShadowLimitB+0], 16 // extend limit for pre-pad
s_addc_u32 s[sgprShadowLimitB+1], s[sgprShadowLimitB+1], 0 // extend limit for pre-pad
s_cmp_eq_u32 s[sgprShadowLimitB+1], 0              // are we within 2^32?
s_cselect_b32 s[sgprSrdB+2], s[sgprShadowLimitB+0], BufferLimitB // Move shadow to real if we are within 2^32
s_mul_hi_u32 s61, s[sgprStrideBK], s[sgprWorkGroup2] // Stride*WG
s_mul_i32 s60, s[sgprStrideBK], s[sgprWorkGroup2]  // Stride*WG
s_add_u32 s62, s62, s60                            // accum wg term to tilestart
s_addc_u32 s63, s63, s61                           // accum wg term to tilestart
s_lshl_b64 s[62:63], s[62:63], 0x1                 // tileStart *= BPE
s_add_u32 s[sgprSrdB+0], s[sgprSrdB+0], s62        // SRD base = Address+ tileStart0
s_addc_u32 s[sgprSrdB+1], s[sgprSrdB+1], s63       // SRD base = Address+ tileStart1
s_mov_b32 s[sgprSrdB+3], Srd127_96                 // Set bits 127_96 in SRD


/* global read addresses: increments a */

s_mul_i32 s[sgprGlobalReadIncsA+0], DepthU*BpeA*5, s[sgprStrideAL] // incrA unrollIdx)


/* global read addresses: increments b */

s_mov_b32 s[sgprGlobalReadIncsB+0], DepthU*BpeB*5  // incrB (unrollIdx)

/* declare loop num iterations */


s_lshr_b32 s[sgprLoopCounterL], s[sgprSizesSum+0], 6 // s[sgprLoopCounterL] = s[sgprSizesSum+0] / 64
v_mov_b32 v2, s[sgprLoopCounterL]                  // copy for divide IterGsu
s_mov_b32 s60, 0x66666667                          // v0 = v2 / 5
v_mul_hi_u32 v0, v2, s60                           // v0 = v2 / 5
v_lshrrev_b32 v0, 0x1, v0                          // v0 = v2 / 5
s_mov_b32 s60, 0x5                                 // v1 = v2 % 5
v_mul_lo_u32 v1, v0, s60                           // v1 = v2 % 5
_v_sub_u32 v1, v2, v1                              // v1 = v2 % 5
v_readfirstlane_b32 s[sgprLoopCounterL], v0        // 
v_readfirstlane_b32 s[sgprGSUSumIdx+1], v1         // 
s_add_u32 s60, 1, s[sgprLoopCounterL]              // tmp<-numIterMyWg+
s_cmp_lt_u32 s[sgprGSUSumIdx], s[sgprGSUSumIdx+1]  // gsuSumIdx < numIterPerWgRemainder
s_cmov_b32 s[sgprLoopCounterL], s60                // numIterMyWg++ if needed
s_mov_b32 s[sgprOrigLoopCounter], s[sgprLoopCounterL] // copy loop counter

/* local read addresses: init pointers a */


/* localReadInitPointers */

/* local read addresses: init pointers b */


/* localReadInitPointers */


/* prefetch: global -> local */

s_cmp_eq_u32 s[sgprLoopCounterL], 0                // at last iteration?
s_cbranch_scc1 ShadowInitStart_10                  // skip to ShadowInitStart iter b/c numIter==0


_buffer_load_b128 v[vgprG2LA+0:vgprG2LA+0+3], v[vgprGlobalReadOffsetA+0], s[sgprSrdA:sgprSrdA+3], 0, offen offset:0 // G -> Reg 0_0_0_0
_buffer_load_b128 v[vgprG2LA+4:vgprG2LA+4+3], v[vgprGlobalReadOffsetA+0], s[sgprSrdA:sgprSrdA+3], s[sgprScalarGlobalReadOffsetA+0], offen offset:0 // G -> Reg 0_0_1_0
_buffer_load_b128 v[vgprG2LA+8:vgprG2LA+8+3], v[vgprGlobalReadOffsetA+0], s[sgprSrdA:sgprSrdA+3], s[sgprScalarGlobalReadOffsetA+1], offen offset:0 // G -> Reg 0_0_2_0
_buffer_load_b128 v[vgprG2LA+12:vgprG2LA+12+3], v[vgprGlobalReadOffsetA+0], s[sgprSrdA:sgprSrdA+3], s[sgprScalarGlobalReadOffsetA+2], offen offset:0 // G -> Reg 0_0_3_0


_buffer_load_b128 v[vgprG2LB+0:vgprG2LB+0+3], v[vgprGlobalReadOffsetB+0], s[sgprSrdB:sgprSrdB+3], 0, offen offset:0 // G -> Reg 0_0_0_0
_buffer_load_b128 v[vgprG2LB+4:vgprG2LB+4+3], v[vgprGlobalReadOffsetB+0], s[sgprSrdB:sgprSrdB+3], s[sgprScalarGlobalReadOffsetB+0], offen offset:0 // G -> Reg 0_0_1_0


/* global read inc A loopL */
s_add_u32 s[sgprSrdA+0], s[sgprSrdA+0], s[sgprGlobalReadIncsA+0] // gra SRD += inc(lower)
s_addc_u32  s[sgprSrdA+1], s[sgprSrdA+1], 0        // gra SRD += inc(upper)
s_sub_u32 s[sgprShadowLimitA+0], s[sgprShadowLimitA+0], s[sgprGlobalReadIncsA+0] // limit -= inc)
s_subb_u32 s[sgprShadowLimitA+1], s[sgprShadowLimitA+1], 0 // limit -= inc)
s_cmp_eq_u32 s[sgprShadowLimitA+1], 0              // are we within 2^32?
s_cmov_b32 s[sgprSrdA+2], s[sgprShadowLimitA+0]    // Move shadow to real if we are within 2^32

/* global read inc B loopL */
s_add_u32 s[sgprSrdB+0], s[sgprSrdB+0], s[sgprGlobalReadIncsB+0] // gra SRD += inc(lower)
s_addc_u32  s[sgprSrdB+1], s[sgprSrdB+1], 0        // gra SRD += inc(upper)
s_sub_u32 s[sgprShadowLimitB+0], s[sgprShadowLimitB+0], s[sgprGlobalReadIncsB+0] // limit -= inc)
s_subb_u32 s[sgprShadowLimitB+1], s[sgprShadowLimitB+1], 0 // limit -= inc)
s_cmp_eq_u32 s[sgprShadowLimitB+1], 0              // are we within 2^32?
s_cmov_b32 s[sgprSrdB+2], s[sgprShadowLimitB+0]    // Move shadow to real if we are within 2^32


/******************************************/
/* End setupNewTile, isPap=False             */
/******************************************/

ShadowInitStart_10: // 

s_mov_b32 s[sgprSrdD+2], BufferOOB                 // 
s_mov_b32 s[sgprSrdD+3], Srd127_96                 // Set bits 127_96 in post-loop SRD

s_mov_b32 s[sgprSrdC+2], BufferOOB                 // 
s_mov_b32 s[sgprSrdC+3], Srd127_96                 // Set bits 127_96 in post-loop SRD


s_mul_i32 s62, MT1, s[sgprWorkGroup1]              // <- wg1*MT1
s_mul_hi_u32 s61, s62, s[sgprStrideC1J]            // CScale s62 by Stride
s_mul_i32 s60, s62, s[sgprStrideC1J]               // CScale s62 by Stride
s_lshl_b64 s[60:61], s[60:61], 2                   // scale by bpe
s_add_u32 s[sgprSrdC+0], s[sgprSrdC+0], s60        // add lo to SRD
s_addc_u32 s[sgprSrdC+1], s[sgprSrdC+1], s61       // add hi to SRD
s_mul_hi_u32 s61, s62, s[sgprStrideD1J]            // Scale s62 by Stride
s_mul_i32 s60, s62, s[sgprStrideD1J]               // Scale s62 by Stride
s_lshl_b64 s[60:61], s[60:61], 2                   // scale by bpe
s_add_u32 s[sgprSrdD+0], s[sgprSrdD+0], s60        // add lo to SRD
s_addc_u32 s[sgprSrdD+1], s[sgprSrdD+1], s61       // add hi to SRD

s_mul_hi_u32 s61, s[sgprWorkGroup2], s[sgprStrideCK] // CScale s[sgprWorkGroup2] by Stride
s_mul_i32 s60, s[sgprWorkGroup2], s[sgprStrideCK]  // CScale s[sgprWorkGroup2] by Stride
s_lshl_b64 s[60:61], s[60:61], 2                   // scale by bpe
s_add_u32 s[sgprSrdC+0], s[sgprSrdC+0], s60        // add lo to SRD
s_addc_u32 s[sgprSrdC+1], s[sgprSrdC+1], s61       // add hi to SRD
s_mul_hi_u32 s61, s[sgprWorkGroup2], s[sgprStrideDK] // Scale s[sgprWorkGroup2] by Stride
s_mul_i32 s60, s[sgprWorkGroup2], s[sgprStrideDK]  // Scale s[sgprWorkGroup2] by Stride
s_lshl_b64 s[60:61], s[60:61], 2                   // scale by bpe
s_add_u32 s[sgprSrdD+0], s[sgprSrdD+0], s60        // add lo to SRD
s_addc_u32 s[sgprSrdD+1], s[sgprSrdD+1], s61       // add hi to SRD

// GSU Output Buffer offset: Free0 + (Free1-1)*StrideC1J + (Free2-1)*StrideCK * GSUIdx * bpe
s_mul_hi_u32 s11, s[sgprSizesFree+0], s[sgprGSUSumIdx] // Free0
s_mul_i32 s10, s[sgprSizesFree+0], s[sgprGSUSumIdx] // Free0
s_sub_u32 s39, s[sgprSizesFree+1], 1               // Free1
s_mul_i32 s39, s39, s[sgprGSUSumIdx]               // Free1
s_mul_hi_u32 s65, s39, s[sgprStrideC1J]            // Free1
s_mul_i32 s64, s39, s[sgprStrideC1J]               // Free1
s_add_u32 s10, s10, s64                            // Free1
s_addc_u32 s11, s11, s65                           // Free1
s_sub_u32 s39, s[sgprSizesFree+2], 1               // Free2
s_mul_i32 s39, s39, s[sgprGSUSumIdx]               // Free2
s_mul_hi_u32 s65, s39, s[sgprStrideCK]             // Free2
s_mul_i32 s64, s39, s[sgprStrideCK]                // Free2
s_add_u32 s10, s10, s64                            // Free2
s_addc_u32 s11, s11, s65                           // Free2
s_lshl_b64 s[10:11], s[10:11], 2                   // scale by bpe
s_add_u32 s[sgprSrdD+0], s[sgprSrdD+0], s10        // add lo GSU offset to SRD
s_addc_u32 s[sgprSrdD+1], s[sgprSrdD+1], s11       // add hi GSU offset to SRD


/* initC: remove C-tile 0-0 from pool */

/* initC: remove AB-tile 0-48 from pool */
v_accvgpr_write acc0, 0x0                          // initC
v_accvgpr_write acc1, 0x0                          // initC
v_accvgpr_write acc2, 0x0                          // initC
v_accvgpr_write acc3, 0x0                          // initC
v_accvgpr_write acc4, 0x0                          // initC
v_accvgpr_write acc5, 0x0                          // initC
v_accvgpr_write acc6, 0x0                          // initC
v_accvgpr_write acc7, 0x0                          // initC
v_accvgpr_write acc8, 0x0                          // initC
v_accvgpr_write acc9, 0x0                          // initC
v_accvgpr_write acc10, 0x0                         // initC
v_accvgpr_write acc11, 0x0                         // initC
v_accvgpr_write acc12, 0x0                         // initC
v_accvgpr_write acc13, 0x0                         // initC
v_accvgpr_write acc14, 0x0                         // initC
v_accvgpr_write acc15, 0x0                         // initC
v_accvgpr_write acc16, 0x0                         // initC
v_accvgpr_write acc17, 0x0                         // initC
v_accvgpr_write acc18, 0x0                         // initC
v_accvgpr_write acc19, 0x0                         // initC
v_accvgpr_write acc20, 0x0                         // initC
v_accvgpr_write acc21, 0x0                         // initC
v_accvgpr_write acc22, 0x0                         // initC
v_accvgpr_write acc23, 0x0                         // initC
v_accvgpr_write acc24, 0x0                         // initC
v_accvgpr_write acc25, 0x0                         // initC
v_accvgpr_write acc26, 0x0                         // initC
v_accvgpr_write acc27, 0x0                         // initC
v_accvgpr_write acc28, 0x0                         // initC
v_accvgpr_write acc29, 0x0                         // initC
v_accvgpr_write acc30, 0x0                         // initC
v_accvgpr_write acc31, 0x0                         // initC

s_cmp_eq_u32 s[sgprLoopCounterL], 0                // at last iteration?

/* after InitC, skip to end of prefetch last iter if numIter==0 */
s_cbranch_scc0 label_NoBranch_11                   // Only branch on scc1
s_getpc_B64 s[60:61]                               // addr of next instr
s_add_i32 s62, PrefetchGlobalLastIterEnd_5, 0x4    // target branch offset
s_add_u32 s60, s60, s62                            // add target branch offset
s_addc_u32 s61, s61, 0                             // add high and carry
s_setpc_b64 s[60:61]                               // branch to PrefetchGlobalLastIterEnd_5
label_NoBranch_11:

s_waitcnt vmcnt(0)                                 // lgkmcnt=-1 vmcnt=0 8wait for global read


/* local write a */
_ds_store_b128 v[vgprLocalWriteAddrA], v[vgprG2LA+0:vgprG2LA+0+3] offset:0 // lwoA_0_0_0_0 = (0*LSCA) + (0*LSPA)(*MT0I+PAD) = 0
_ds_store_b128 v[vgprLocalWriteAddrA], v[vgprG2LA+4:vgprG2LA+4+3] offset:1024 // lwoA_0_0_1_0 = (0*LSCA) + (1*LSPA)(*MT0I+PAD) = 1024
_ds_store_b128 v[vgprLocalWriteAddrA], v[vgprG2LA+8:vgprG2LA+8+3] offset:2048 // lwoA_0_0_2_0 = (0*LSCA) + (2*LSPA)(*MT0I+PAD) = 2048
_ds_store_b128 v[vgprLocalWriteAddrA], v[vgprG2LA+12:vgprG2LA+12+3] offset:3072 // lwoA_0_0_3_0 = (0*LSCA) + (3*LSPA)(*MT0I+PAD) = 3072

/* local write b */
_ds_store_b128 v[vgprLocalWriteAddrB], v[vgprG2LB+0:vgprG2LB+0+3] offset:0 // lwoB_0_0_0_0 = (0*LSCB)*(MT1J+PAD) + (0*LSPB) = 0
_ds_store_b128 v[vgprLocalWriteAddrB], v[vgprG2LB+4:vgprG2LB+4+3] offset:1152 // lwoB_0_0_1_0 = (0*LSCB)*(MT1J+PAD) + (1*LSPB) = 1152


/* local write swap a */


/* (EPS=1) local write swap internal offset -> 32768 */


/* local write swap b */


/* (EPS=1) local write swap internal offset -> 32768 */


	;; [unrolled: 1-line block ×3, first 2 shown]
s_waitcnt lgkmcnt(0)                               // lgkmcnt=0 vmcnt=-10prefetch wait for local write

s_waitcnt lgkmcnt(0) & vmcnt(0)                    // force waitcnt0
s_barrier //


/* local read prefetch a */

_ds_load_u16 v[vgprValuA_X0_I0+0], v[vgprLocalReadAddrA] offset:0 // L -> Reg lro=0 swapByteOffset=0 ti=64 vIdx=0 rIdx=0 oIdx=0 buffer=0 iui=0
_ds_load_u16_d16_hi v79, v[vgprLocalReadAddrA] offset:256 // L -> Reg lro=0 swapByteOffset=0 ti=64 vIdx=0 rIdx=1 oIdx=0 buffer=0 iui=0
_ds_load_u16 v[vgprValuA_X0_I0+1], v[vgprLocalReadAddrA] offset:128 // L -> Reg lro=0 swapByteOffset=0 ti=64 vIdx=1 rIdx=0 oIdx=0 buffer=0 iui=0
_ds_load_u16_d16_hi v80, v[vgprLocalReadAddrA] offset:384 // L -> Reg lro=0 swapByteOffset=0 ti=64 vIdx=1 rIdx=1 oIdx=0 buffer=0 iui=0


/* local read prefetch b */

_ds_load_b64 v[vgprValuB_X0_I0+0:vgprValuB_X0_I0+0+1], v[vgprLocalReadAddrB] offset:0 // L -> Reg lro=0 swapByteOffset=0 ti=64 vIdx=0 rIdx=0 oIdx=0 buffer=0 iui=0


/* local read inc a */

/* N/A, lro->256 */
/* self.localReadDoCntA 1 self.localReadDoCntB 1 */


/* local read inc b */

/* N/A, lro->8 */
/* self.localReadDoCntA 1 self.localReadDoCntB 1 */


	;; [unrolled: 1-line block ×3, first 2 shown]
/******************************************/
/* Unrolled Loop(s) - Begin               */
/******************************************/

openLoopL_12:
s_cmp_le_u32 s[sgprLoopCounterL], 0x1              // LoopCounterL < EndCounter
s_cbranch_scc1 LoopEndL_2                          // do not enter LoopL
LoopBeginL_1:


/******************************************/
/* Unrolled Loop 1/2 - Begin              */
/******************************************/

label_0013: // LoopCopy1 


/* Begin Each Unroll: Check VGPR.checkin for INT8 LW */


	;; [unrolled: 1-line block ×3, first 2 shown]
/* iter 0 */

/*  grEndMfmaIndex:5, lwStartMfmaIndex:23, lwEndMfmaIndex:28  */
/*  numMfmaForLR:1, barrierMfmaIndex:30 */
/*  mfmaIndex:0  */
_buffer_load_b128 v[vgprG2LA+0:vgprG2LA+0+3], v[vgprGlobalReadOffsetA+0], s[sgprSrdA:sgprSrdA+3], 0, offen offset:0 // G -> Reg 0_0_0_0
s_waitcnt lgkmcnt(0)                               // lgkmcnt=0 vmcnt=-1wait for prior local read local write old=0, new=0 newLW=0 newLR=0
/* pack scheduling: packAIdx:1, packBIdx:0 */
v_or_b32 v[vgprValuA_X0_I0+0], v[vgprValuA_X0_I0+0], v79 // pack two half Vgpr to one Vgpr
v_or_b32 v[vgprValuA_X0_I0+1], v[vgprValuA_X0_I0+1], v80 // pack two half Vgpr to one Vgpr
s_nop  0                                           // VALU packing writes to be consumed by matrix instruction
v_mfma_f32_32x32x4bf16 a[0+0:15+0], v[vgprValuA_X0_I0+0+0+0], v[vgprValuB_X0_I0+0+0+0], a[0:15]
/*  mfmaIndex:1  */
_ds_load_u16 v[vgprValuA_X1_I0+0], v[vgprLocalReadAddrA] offset:512 // L -> Reg lro=256 swapByteOffset=0 ti=64 vIdx=0 rIdx=0 oIdx=0 buffer=1 iui=0
_ds_load_u16_d16_hi v81, v[vgprLocalReadAddrA] offset:768 // L -> Reg lro=256 swapByteOffset=0 ti=64 vIdx=0 rIdx=1 oIdx=0 buffer=1 iui=0
_ds_load_b64 v[vgprValuB_X2_I0+0:vgprValuB_X2_I0+0+1], v[vgprLocalReadAddrB] offset:16 // L -> Reg lro=8 swapByteOffset=0 ti=64 vIdx=0 rIdx=0 oIdx=0 buffer=2 iui=0
_ds_load_u16 v[vgprValuA_X1_I0+1], v[vgprLocalReadAddrA] offset:640 // L -> Reg lro=256 swapByteOffset=0 ti=64 vIdx=1 rIdx=0 oIdx=0 buffer=1 iui=0
_ds_load_u16_d16_hi v82, v[vgprLocalReadAddrA] offset:896 // L -> Reg lro=256 swapByteOffset=0 ti=64 vIdx=1 rIdx=1 oIdx=0 buffer=1 iui=0
/* localReadsVacancy: latencyLeft 3 */
_ds_load_u16 v[vgprValuA_X2_I0+0], v[vgprLocalReadAddrA] offset:2048 // L -> Reg lro=1024 swapByteOffset=0 ti=64 vIdx=0 rIdx=0 oIdx=0 buffer=2 iui=0
_buffer_load_b128 v[vgprG2LA+4:vgprG2LA+4+3], v[vgprGlobalReadOffsetA+0], s[sgprSrdA:sgprSrdA+3], s[sgprScalarGlobalReadOffsetA+0], offen offset:0 // G -> Reg 0_0_1_0
v_mfma_f32_32x32x4bf16 a[16+0:31+0], v[vgprValuA_X0_I0+1+0+0], v[vgprValuB_X0_I0+0+0+0], a[16:31]
/* numPrefetchIter=0 */
/* dataAtIterA=-1 numReadsIterA=1 skipReadsIterA=1 readsPerIterA=4 */
/* dataAtIterB=-1 numReadsIterB=1 skipReadsIterB=1 readsPerIterB=1 */


/* iter 1 */

/*  grEndMfmaIndex:5, lwStartMfmaIndex:23, lwEndMfmaIndex:28  */
/*  numMfmaForLR:1, barrierMfmaIndex:30 */
/*  mfmaIndex:2  */
_ds_load_u16_d16_hi v79, v[vgprLocalReadAddrA] offset:2304 // L -> Reg lro=1024 swapByteOffset=0 ti=64 vIdx=0 rIdx=1 oIdx=0 buffer=2 iui=0
_ds_load_b64 v[vgprValuB_X4_I0+0:vgprValuB_X4_I0+0+1], v[vgprLocalReadAddrB] offset:32 // L -> Reg lro=16 swapByteOffset=0 ti=64 vIdx=0 rIdx=0 oIdx=0 buffer=4 iui=0
_ds_load_u16 v[vgprValuA_X2_I0+1], v[vgprLocalReadAddrA] offset:2176 // L -> Reg lro=1024 swapByteOffset=0 ti=64 vIdx=1 rIdx=0 oIdx=0 buffer=2 iui=0
_ds_load_u16_d16_hi v80, v[vgprLocalReadAddrA] offset:2432 // L -> Reg lro=1024 swapByteOffset=0 ti=64 vIdx=1 rIdx=1 oIdx=0 buffer=2 iui=0
/* localReadsVacancy: latencyLeft 5 */
_ds_load_u16 v[vgprValuA_X3_I0+0], v[vgprLocalReadAddrA] offset:2560 // L -> Reg lro=1280 swapByteOffset=0 ti=64 vIdx=0 rIdx=0 oIdx=0 buffer=3 iui=0
_ds_load_b64 v[vgprValuB_X6_I0+0:vgprValuB_X6_I0+0+1], v[vgprLocalReadAddrB] offset:48 // L -> Reg lro=24 swapByteOffset=0 ti=64 vIdx=0 rIdx=0 oIdx=0 buffer=6 iui=0
_buffer_load_b128 v[vgprG2LA+8:vgprG2LA+8+3], v[vgprGlobalReadOffsetA+0], s[sgprSrdA:sgprSrdA+3], s[sgprScalarGlobalReadOffsetA+1], offen offset:0 // G -> Reg 0_0_2_0
s_waitcnt lgkmcnt(7)                               // lgkmcnt=0 vmcnt=-1wait for prior local read local write old=1, new=5 newLW=0 newLR=4
/* pack scheduling: packAIdx:1, packBIdx:0 */
v_or_b32 v[vgprValuA_X1_I0+0], v[vgprValuA_X1_I0+0], v81 // pack two half Vgpr to one Vgpr
v_or_b32 v[vgprValuA_X1_I0+1], v[vgprValuA_X1_I0+1], v82 // pack two half Vgpr to one Vgpr
s_nop  0                                           // VALU packing writes to be consumed by matrix instruction
v_mfma_f32_32x32x4bf16 a[0+0:15+0], v[vgprValuA_X1_I0+0+0+0], v[vgprValuB_X0_I0+0+1+0], a[0:15]
/*  mfmaIndex:3  */
/* localReadsVacancy: latencyLeft 13 */
_ds_load_u16 v[vgprValuA_X3_I0+1], v[vgprLocalReadAddrA] offset:2688 // L -> Reg lro=1280 swapByteOffset=0 ti=64 vIdx=1 rIdx=0 oIdx=0 buffer=3 iui=0
_ds_load_u16 v[vgprValuA_X4_I0+0], v[vgprLocalReadAddrA] offset:4096 // L -> Reg lro=2048 swapByteOffset=0 ti=64 vIdx=0 rIdx=0 oIdx=0 buffer=4 iui=0
_ds_load_b64 v[vgprValuB_X8_I0+0:vgprValuB_X8_I0+0+1], v[vgprLocalReadAddrB] offset:64 // L -> Reg lro=32 swapByteOffset=0 ti=64 vIdx=0 rIdx=0 oIdx=0 buffer=8 iui=0
_ds_load_u16 v[vgprValuA_X4_I0+1], v[vgprLocalReadAddrA] offset:4224 // L -> Reg lro=2048 swapByteOffset=0 ti=64 vIdx=1 rIdx=0 oIdx=0 buffer=4 iui=0
_ds_load_u16 v[vgprValuA_X5_I0+0], v[vgprLocalReadAddrA] offset:4608 // L -> Reg lro=2304 swapByteOffset=0 ti=64 vIdx=0 rIdx=0 oIdx=0 buffer=5 iui=0
_ds_load_b64 v[vgprValuB_X10_I0+0:vgprValuB_X10_I0+0+1], v[vgprLocalReadAddrB] offset:80 // L -> Reg lro=40 swapByteOffset=0 ti=64 vIdx=0 rIdx=0 oIdx=0 buffer=10 iui=0
_buffer_load_b128 v[vgprG2LA+12:vgprG2LA+12+3], v[vgprGlobalReadOffsetA+0], s[sgprSrdA:sgprSrdA+3], s[sgprScalarGlobalReadOffsetA+2], offen offset:0 // G -> Reg 0_0_3_0
v_mfma_f32_32x32x4bf16 a[16+0:31+0], v[vgprValuA_X1_I0+1+0+0], v[vgprValuB_X0_I0+0+1+0], a[16:31]
/* numPrefetchIter=0 */
/* dataAtIterA=0 numReadsIterA=2 skipReadsIterA=1 readsPerIterA=4 */
/* dataAtIterB=-1 numReadsIterB=2 skipReadsIterB=0 readsPerIterB=1 */


/* iter 2 */

/*  grEndMfmaIndex:5, lwStartMfmaIndex:23, lwEndMfmaIndex:28  */
/*  numMfmaForLR:1, barrierMfmaIndex:30 */
/*  mfmaIndex:4  */
_ds_load_u16_d16_hi v81, v[vgprLocalReadAddrA] offset:2816 // L -> Reg lro=1280 swapByteOffset=0 ti=64 vIdx=0 rIdx=1 oIdx=0 buffer=3 iui=0
_ds_load_u16_d16_hi v82, v[vgprLocalReadAddrA] offset:2944 // L -> Reg lro=1280 swapByteOffset=0 ti=64 vIdx=1 rIdx=1 oIdx=0 buffer=3 iui=0
/* localReadsVacancy: latencyLeft 9 */
_ds_load_u16 v[vgprValuA_X5_I0+1], v[vgprLocalReadAddrA] offset:4736 // L -> Reg lro=2304 swapByteOffset=0 ti=64 vIdx=1 rIdx=0 oIdx=0 buffer=5 iui=0
_ds_load_u16 v[vgprValuA_X6_I0+0], v[vgprLocalReadAddrA] offset:6144 // L -> Reg lro=3072 swapByteOffset=0 ti=64 vIdx=0 rIdx=0 oIdx=0 buffer=6 iui=0
_ds_load_b64 v[vgprValuB_X12_I0+0:vgprValuB_X12_I0+0+1], v[vgprLocalReadAddrB] offset:96 // L -> Reg lro=48 swapByteOffset=0 ti=64 vIdx=0 rIdx=0 oIdx=0 buffer=12 iui=0
_ds_load_u16 v[vgprValuA_X6_I0+1], v[vgprLocalReadAddrA] offset:6272 // L -> Reg lro=3072 swapByteOffset=0 ti=64 vIdx=1 rIdx=0 oIdx=0 buffer=6 iui=0
_buffer_load_b128 v[vgprG2LB+0:vgprG2LB+0+3], v[vgprGlobalReadOffsetB+0], s[sgprSrdB:sgprSrdB+3], 0, offen offset:0 // G -> Reg 0_0_0_0
s_waitcnt lgkmcnt(14)                              // lgkmcnt=0 vmcnt=-1wait for prior local read local write old=3, new=5 newLW=0 newLR=2
/* pack scheduling: packAIdx:1, packBIdx:0 */
v_or_b32 v[vgprValuA_X2_I0+0], v[vgprValuA_X2_I0+0], v79 // pack two half Vgpr to one Vgpr
v_or_b32 v[vgprValuA_X2_I0+1], v[vgprValuA_X2_I0+1], v80 // pack two half Vgpr to one Vgpr
s_nop  0                                           // VALU packing writes to be consumed by matrix instruction
v_mfma_f32_32x32x4bf16 a[0+0:15+0], v[vgprValuA_X2_I0+0+0+0], v[vgprValuB_X2_I0+0+0+0], a[0:15]
/*  mfmaIndex:5  */
/* localReadsVacancy: latencyLeft 13 */
_ds_load_u16 v[vgprValuA_X7_I0+0], v[vgprLocalReadAddrA] offset:6656 // L -> Reg lro=3328 swapByteOffset=0 ti=64 vIdx=0 rIdx=0 oIdx=0 buffer=7 iui=0
_ds_load_b64 v[vgprValuB_X14_I0+0:vgprValuB_X14_I0+0+1], v[vgprLocalReadAddrB] offset:112 // L -> Reg lro=56 swapByteOffset=0 ti=64 vIdx=0 rIdx=0 oIdx=0 buffer=14 iui=0
_ds_load_u16 v[vgprValuA_X7_I0+1], v[vgprLocalReadAddrA] offset:6784 // L -> Reg lro=3328 swapByteOffset=0 ti=64 vIdx=1 rIdx=0 oIdx=0 buffer=7 iui=0
_ds_load_u16 v[vgprValuA_X8_I0+0], v[vgprLocalReadAddrA] offset:8192 // L -> Reg lro=4096 swapByteOffset=0 ti=64 vIdx=0 rIdx=0 oIdx=0 buffer=8 iui=0
_ds_load_u16 v[vgprValuA_X8_I0+1], v[vgprLocalReadAddrA] offset:8320 // L -> Reg lro=4096 swapByteOffset=0 ti=64 vIdx=1 rIdx=0 oIdx=0 buffer=8 iui=0
_ds_load_u16 v[vgprValuA_X9_I0+0], v[vgprLocalReadAddrA] offset:8704 // L -> Reg lro=4352 swapByteOffset=0 ti=64 vIdx=0 rIdx=0 oIdx=0 buffer=9 iui=0
_buffer_load_b128 v[vgprG2LB+4:vgprG2LB+4+3], v[vgprGlobalReadOffsetB+0], s[sgprSrdB:sgprSrdB+3], s[sgprScalarGlobalReadOffsetB+0], offen offset:0 // G -> Reg 0_0_1_0
v_mfma_f32_32x32x4bf16 a[16+0:31+0], v[vgprValuA_X2_I0+1+0+0], v[vgprValuB_X2_I0+0+0+0], a[16:31]
/* numPrefetchIter=0 */
/* dataAtIterA=1 numReadsIterA=3 skipReadsIterA=1 readsPerIterA=4 */
/* dataAtIterB=0 numReadsIterB=3 skipReadsIterB=0 readsPerIterB=1 */


/* iter 3 */

/*  grEndMfmaIndex:5, lwStartMfmaIndex:23, lwEndMfmaIndex:28  */
/*  numMfmaForLR:1, barrierMfmaIndex:30 */
/*  mfmaIndex:6  */
_ds_load_u16_d16_hi v79, v[vgprLocalReadAddrA] offset:4352 // L -> Reg lro=2048 swapByteOffset=0 ti=64 vIdx=0 rIdx=1 oIdx=0 buffer=4 iui=0
_ds_load_u16_d16_hi v80, v[vgprLocalReadAddrA] offset:4480 // L -> Reg lro=2048 swapByteOffset=0 ti=64 vIdx=1 rIdx=1 oIdx=0 buffer=4 iui=0
/* localReadsVacancy: latencyLeft 9 */
_ds_load_u16 v[vgprValuA_X9_I0+1], v[vgprLocalReadAddrA] offset:8832 // L -> Reg lro=4352 swapByteOffset=0 ti=64 vIdx=1 rIdx=0 oIdx=0 buffer=9 iui=0
_ds_load_u16 v[vgprValuA_X10_I0+0], v[vgprLocalReadAddrA] offset:10240 // L -> Reg lro=5120 swapByteOffset=0 ti=64 vIdx=0 rIdx=0 oIdx=0 buffer=10 iui=0
_ds_load_u16 v[vgprValuA_X10_I0+1], v[vgprLocalReadAddrA] offset:10368 // L -> Reg lro=5120 swapByteOffset=0 ti=64 vIdx=1 rIdx=0 oIdx=0 buffer=10 iui=0
_ds_load_u16 v[vgprValuA_X11_I0+0], v[vgprLocalReadAddrA] offset:10752 // L -> Reg lro=5376 swapByteOffset=0 ti=64 vIdx=0 rIdx=0 oIdx=0 buffer=11 iui=0

/* global read inc A loopL */
s_add_u32 s[sgprSrdA+0], s[sgprSrdA+0], s[sgprGlobalReadIncsA+0] // gra SRD += inc(lower)
s_addc_u32  s[sgprSrdA+1], s[sgprSrdA+1], 0        // gra SRD += inc(upper)
s_sub_u32 s[sgprShadowLimitA+0], s[sgprShadowLimitA+0], s[sgprGlobalReadIncsA+0] // limit -= inc)
s_subb_u32 s[sgprShadowLimitA+1], s[sgprShadowLimitA+1], 0 // limit -= inc)
s_cmp_eq_u32 s[sgprShadowLimitA+1], 0              // are we within 2^32?
s_cmov_b32 s[sgprSrdA+2], s[sgprShadowLimitA+0]    // Move shadow to real if we are within 2^32

/* global read inc B loopL */
s_add_u32 s[sgprSrdB+0], s[sgprSrdB+0], s[sgprGlobalReadIncsB+0] // gra SRD += inc(lower)
s_waitcnt lgkmcnt(15)                              // lgkmcnt=0 vmcnt=-1wait for prior local read local write old=0, new=2 newLW=0 newLR=2
/* pack scheduling: packAIdx:1, packBIdx:0 */
v_or_b32 v[vgprValuA_X3_I0+0], v[vgprValuA_X3_I0+0], v81 // pack two half Vgpr to one Vgpr
v_or_b32 v[vgprValuA_X3_I0+1], v[vgprValuA_X3_I0+1], v82 // pack two half Vgpr to one Vgpr
s_nop  0                                           // VALU packing writes to be consumed by matrix instruction
v_mfma_f32_32x32x4bf16 a[0+0:15+0], v[vgprValuA_X3_I0+0+0+0], v[vgprValuB_X2_I0+0+1+0], a[0:15]
/*  mfmaIndex:7  */
/* localReadsVacancy: latencyLeft 13 */
_ds_load_u16 v[vgprValuA_X11_I0+1], v[vgprLocalReadAddrA] offset:10880 // L -> Reg lro=5376 swapByteOffset=0 ti=64 vIdx=1 rIdx=0 oIdx=0 buffer=11 iui=0
_ds_load_u16 v[vgprValuA_X12_I0+0], v[vgprLocalReadAddrA] offset:12288 // L -> Reg lro=6144 swapByteOffset=0 ti=64 vIdx=0 rIdx=0 oIdx=0 buffer=12 iui=0
_ds_load_u16 v[vgprValuA_X12_I0+1], v[vgprLocalReadAddrA] offset:12416 // L -> Reg lro=6144 swapByteOffset=0 ti=64 vIdx=1 rIdx=0 oIdx=0 buffer=12 iui=0
_ds_load_u16 v[vgprValuA_X13_I0+0], v[vgprLocalReadAddrA] offset:12800 // L -> Reg lro=6400 swapByteOffset=0 ti=64 vIdx=0 rIdx=0 oIdx=0 buffer=13 iui=0
_ds_load_u16 v[vgprValuA_X13_I0+1], v[vgprLocalReadAddrA] offset:12928 // L -> Reg lro=6400 swapByteOffset=0 ti=64 vIdx=1 rIdx=0 oIdx=0 buffer=13 iui=0
_ds_load_u16 v[vgprValuA_X14_I0+0], v[vgprLocalReadAddrA] offset:14336 // L -> Reg lro=7168 swapByteOffset=0 ti=64 vIdx=0 rIdx=0 oIdx=0 buffer=14 iui=0
s_addc_u32  s[sgprSrdB+1], s[sgprSrdB+1], 0        // gra SRD += inc(upper)
s_sub_u32 s[sgprShadowLimitB+0], s[sgprShadowLimitB+0], s[sgprGlobalReadIncsB+0] // limit -= inc)
s_subb_u32 s[sgprShadowLimitB+1], s[sgprShadowLimitB+1], 0 // limit -= inc)
s_cmp_eq_u32 s[sgprShadowLimitB+1], 0              // are we within 2^32?
s_cmov_b32 s[sgprSrdB+2], s[sgprShadowLimitB+0]    // Move shadow to real if we are within 2^32
v_mfma_f32_32x32x4bf16 a[16+0:31+0], v[vgprValuA_X3_I0+1+0+0], v[vgprValuB_X2_I0+0+1+0], a[16:31]
/* numPrefetchIter=0 */
/* dataAtIterA=2 numReadsIterA=4 skipReadsIterA=1 readsPerIterA=4 */
/* dataAtIterB=0 numReadsIterB=4 skipReadsIterB=0 readsPerIterB=1 */


/* iter 4 */

/*  grEndMfmaIndex:5, lwStartMfmaIndex:23, lwEndMfmaIndex:28  */
/*  numMfmaForLR:1, barrierMfmaIndex:30 */
/*  mfmaIndex:8  */
_ds_load_u16_d16_hi v81, v[vgprLocalReadAddrA] offset:4864 // L -> Reg lro=2304 swapByteOffset=0 ti=64 vIdx=0 rIdx=1 oIdx=0 buffer=5 iui=0
_ds_load_u16_d16_hi v82, v[vgprLocalReadAddrA] offset:4992 // L -> Reg lro=2304 swapByteOffset=0 ti=64 vIdx=1 rIdx=1 oIdx=0 buffer=5 iui=0
/* localReadsVacancy: latencyLeft 9 */
_ds_load_u16 v[vgprValuA_X14_I0+1], v[vgprLocalReadAddrA] offset:14464 // L -> Reg lro=7168 swapByteOffset=0 ti=64 vIdx=1 rIdx=0 oIdx=0 buffer=14 iui=0
_ds_load_u16 v[vgprValuA_X15_I0+0], v[vgprLocalReadAddrA] offset:14848 // L -> Reg lro=7424 swapByteOffset=0 ti=64 vIdx=0 rIdx=0 oIdx=0 buffer=15 iui=0
_ds_load_u16 v[vgprValuA_X15_I0+1], v[vgprLocalReadAddrA] offset:14976 // L -> Reg lro=7424 swapByteOffset=0 ti=64 vIdx=1 rIdx=0 oIdx=0 buffer=15 iui=0
s_waitcnt lgkmcnt(15)                              // lgkmcnt=0 vmcnt=-1wait for prior local read local write old=0, new=2 newLW=0 newLR=2
/* pack scheduling: packAIdx:1, packBIdx:0 */
v_or_b32 v[vgprValuA_X4_I0+0], v[vgprValuA_X4_I0+0], v79 // pack two half Vgpr to one Vgpr
v_or_b32 v[vgprValuA_X4_I0+1], v[vgprValuA_X4_I0+1], v80 // pack two half Vgpr to one Vgpr
s_nop  0                                           // VALU packing writes to be consumed by matrix instruction
v_mfma_f32_32x32x4bf16 a[0+0:15+0], v[vgprValuA_X4_I0+0+0+0], v[vgprValuB_X4_I0+0+0+0], a[0:15]
/*  mfmaIndex:9  */
/* localReadsVacancy: latencyLeft 13 */
v_mfma_f32_32x32x4bf16 a[16+0:31+0], v[vgprValuA_X4_I0+1+0+0], v[vgprValuB_X4_I0+0+0+0], a[16:31]
/* numPrefetchIter=0 */
/* dataAtIterA=3 numReadsIterA=5 skipReadsIterA=1 readsPerIterA=4 */
/* dataAtIterB=1 numReadsIterB=5 skipReadsIterB=0 readsPerIterB=1 */


/* iter 5 */

/*  grEndMfmaIndex:5, lwStartMfmaIndex:23, lwEndMfmaIndex:28  */
/*  numMfmaForLR:1, barrierMfmaIndex:30 */
/*  mfmaIndex:10  */
_ds_load_u16_d16_hi v79, v[vgprLocalReadAddrA] offset:6400 // L -> Reg lro=3072 swapByteOffset=0 ti=64 vIdx=0 rIdx=1 oIdx=0 buffer=6 iui=0
_ds_load_u16_d16_hi v80, v[vgprLocalReadAddrA] offset:6528 // L -> Reg lro=3072 swapByteOffset=0 ti=64 vIdx=1 rIdx=1 oIdx=0 buffer=6 iui=0
/* localReadsVacancy: latencyLeft 9 */
s_waitcnt lgkmcnt(5)                               // lgkmcnt=0 vmcnt=-1wait for prior local read local write old=0, new=2 newLW=0 newLR=2
/* pack scheduling: packAIdx:1, packBIdx:0 */
v_or_b32 v[vgprValuA_X5_I0+0], v[vgprValuA_X5_I0+0], v81 // pack two half Vgpr to one Vgpr
v_or_b32 v[vgprValuA_X5_I0+1], v[vgprValuA_X5_I0+1], v82 // pack two half Vgpr to one Vgpr
s_nop  0                                           // VALU packing writes to be consumed by matrix instruction
v_mfma_f32_32x32x4bf16 a[0+0:15+0], v[vgprValuA_X5_I0+0+0+0], v[vgprValuB_X4_I0+0+1+0], a[0:15]
/*  mfmaIndex:11  */
/* localReadsVacancy: latencyLeft 13 */
v_mfma_f32_32x32x4bf16 a[16+0:31+0], v[vgprValuA_X5_I0+1+0+0], v[vgprValuB_X4_I0+0+1+0], a[16:31]
/* numPrefetchIter=0 */
/* dataAtIterA=4 numReadsIterA=6 skipReadsIterA=1 readsPerIterA=4 */
/* dataAtIterB=1 numReadsIterB=6 skipReadsIterB=0 readsPerIterB=1 */


/* iter 6 */

/*  grEndMfmaIndex:5, lwStartMfmaIndex:23, lwEndMfmaIndex:28  */
/*  numMfmaForLR:1, barrierMfmaIndex:30 */
/*  mfmaIndex:12  */
_ds_load_u16_d16_hi v81, v[vgprLocalReadAddrA] offset:6912 // L -> Reg lro=3328 swapByteOffset=0 ti=64 vIdx=0 rIdx=1 oIdx=0 buffer=7 iui=0
_ds_load_u16_d16_hi v82, v[vgprLocalReadAddrA] offset:7040 // L -> Reg lro=3328 swapByteOffset=0 ti=64 vIdx=1 rIdx=1 oIdx=0 buffer=7 iui=0
/* localReadsVacancy: latencyLeft 9 */
s_waitcnt lgkmcnt(2)                               // lgkmcnt=0 vmcnt=-1wait for prior local read local write old=0, new=2 newLW=0 newLR=2
/* pack scheduling: packAIdx:1, packBIdx:0 */
v_or_b32 v[vgprValuA_X6_I0+0], v[vgprValuA_X6_I0+0], v79 // pack two half Vgpr to one Vgpr
v_or_b32 v[vgprValuA_X6_I0+1], v[vgprValuA_X6_I0+1], v80 // pack two half Vgpr to one Vgpr
s_nop  0                                           // VALU packing writes to be consumed by matrix instruction
v_mfma_f32_32x32x4bf16 a[0+0:15+0], v[vgprValuA_X6_I0+0+0+0], v[vgprValuB_X6_I0+0+0+0], a[0:15]
/*  mfmaIndex:13  */
/* localReadsVacancy: latencyLeft 13 */
v_mfma_f32_32x32x4bf16 a[16+0:31+0], v[vgprValuA_X6_I0+1+0+0], v[vgprValuB_X6_I0+0+0+0], a[16:31]
/* numPrefetchIter=0 */
/* dataAtIterA=5 numReadsIterA=7 skipReadsIterA=1 readsPerIterA=4 */
/* dataAtIterB=2 numReadsIterB=7 skipReadsIterB=0 readsPerIterB=1 */


/* iter 7 */

/*  grEndMfmaIndex:5, lwStartMfmaIndex:23, lwEndMfmaIndex:28  */
/*  numMfmaForLR:1, barrierMfmaIndex:30 */
/*  mfmaIndex:14  */
_ds_load_u16_d16_hi v79, v[vgprLocalReadAddrA] offset:8448 // L -> Reg lro=4096 swapByteOffset=0 ti=64 vIdx=0 rIdx=1 oIdx=0 buffer=8 iui=0
_ds_load_u16_d16_hi v80, v[vgprLocalReadAddrA] offset:8576 // L -> Reg lro=4096 swapByteOffset=0 ti=64 vIdx=1 rIdx=1 oIdx=0 buffer=8 iui=0
/* localReadsVacancy: latencyLeft 9 */
s_waitcnt lgkmcnt(2)                               // lgkmcnt=0 vmcnt=-1wait for prior local read local write old=0, new=2 newLW=0 newLR=2
/* pack scheduling: packAIdx:1, packBIdx:0 */
v_or_b32 v[vgprValuA_X7_I0+0], v[vgprValuA_X7_I0+0], v81 // pack two half Vgpr to one Vgpr
v_or_b32 v[vgprValuA_X7_I0+1], v[vgprValuA_X7_I0+1], v82 // pack two half Vgpr to one Vgpr
s_nop  0                                           // VALU packing writes to be consumed by matrix instruction
v_mfma_f32_32x32x4bf16 a[0+0:15+0], v[vgprValuA_X7_I0+0+0+0], v[vgprValuB_X6_I0+0+1+0], a[0:15]
/*  mfmaIndex:15  */
/* localReadsVacancy: latencyLeft 13 */
v_mfma_f32_32x32x4bf16 a[16+0:31+0], v[vgprValuA_X7_I0+1+0+0], v[vgprValuB_X6_I0+0+1+0], a[16:31]
/* numPrefetchIter=0 */
/* dataAtIterA=6 numReadsIterA=8 skipReadsIterA=1 readsPerIterA=4 */
/* dataAtIterB=2 numReadsIterB=7 skipReadsIterB=0 readsPerIterB=1 */


/* iter 8 */

/*  grEndMfmaIndex:5, lwStartMfmaIndex:23, lwEndMfmaIndex:28  */
/*  numMfmaForLR:1, barrierMfmaIndex:30 */
/*  mfmaIndex:16  */
_ds_load_u16_d16_hi v81, v[vgprLocalReadAddrA] offset:8960 // L -> Reg lro=4352 swapByteOffset=0 ti=64 vIdx=0 rIdx=1 oIdx=0 buffer=9 iui=0
_ds_load_u16_d16_hi v82, v[vgprLocalReadAddrA] offset:9088 // L -> Reg lro=4352 swapByteOffset=0 ti=64 vIdx=1 rIdx=1 oIdx=0 buffer=9 iui=0
/* localReadsVacancy: latencyLeft 9 */
s_waitcnt lgkmcnt(2)                               // lgkmcnt=0 vmcnt=-1wait for prior local read local write old=0, new=2 newLW=0 newLR=2
/* pack scheduling: packAIdx:1, packBIdx:0 */
v_or_b32 v[vgprValuA_X8_I0+0], v[vgprValuA_X8_I0+0], v79 // pack two half Vgpr to one Vgpr
v_or_b32 v[vgprValuA_X8_I0+1], v[vgprValuA_X8_I0+1], v80 // pack two half Vgpr to one Vgpr
s_nop  0                                           // VALU packing writes to be consumed by matrix instruction
v_mfma_f32_32x32x4bf16 a[0+0:15+0], v[vgprValuA_X8_I0+0+0+0], v[vgprValuB_X8_I0+0+0+0], a[0:15]
/*  mfmaIndex:17  */
/* localReadsVacancy: latencyLeft 13 */
v_mfma_f32_32x32x4bf16 a[16+0:31+0], v[vgprValuA_X8_I0+1+0+0], v[vgprValuB_X8_I0+0+0+0], a[16:31]
/* numPrefetchIter=0 */
/* dataAtIterA=7 numReadsIterA=9 skipReadsIterA=1 readsPerIterA=4 */
/* dataAtIterB=3 numReadsIterB=7 skipReadsIterB=0 readsPerIterB=1 */


/* iter 9 */

/*  grEndMfmaIndex:5, lwStartMfmaIndex:23, lwEndMfmaIndex:28  */
/*  numMfmaForLR:1, barrierMfmaIndex:30 */
/*  mfmaIndex:18  */
_ds_load_u16_d16_hi v79, v[vgprLocalReadAddrA] offset:10496 // L -> Reg lro=5120 swapByteOffset=0 ti=64 vIdx=0 rIdx=1 oIdx=0 buffer=10 iui=0
_ds_load_u16_d16_hi v80, v[vgprLocalReadAddrA] offset:10624 // L -> Reg lro=5120 swapByteOffset=0 ti=64 vIdx=1 rIdx=1 oIdx=0 buffer=10 iui=0
/* localReadsVacancy: latencyLeft 9 */
s_waitcnt lgkmcnt(2)                               // lgkmcnt=0 vmcnt=-1wait for prior local read local write old=0, new=2 newLW=0 newLR=2
/* pack scheduling: packAIdx:1, packBIdx:0 */
v_or_b32 v[vgprValuA_X9_I0+0], v[vgprValuA_X9_I0+0], v81 // pack two half Vgpr to one Vgpr
v_or_b32 v[vgprValuA_X9_I0+1], v[vgprValuA_X9_I0+1], v82 // pack two half Vgpr to one Vgpr
s_nop  0                                           // VALU packing writes to be consumed by matrix instruction
v_mfma_f32_32x32x4bf16 a[0+0:15+0], v[vgprValuA_X9_I0+0+0+0], v[vgprValuB_X8_I0+0+1+0], a[0:15]
/*  mfmaIndex:19  */
/* localReadsVacancy: latencyLeft 13 */
v_mfma_f32_32x32x4bf16 a[16+0:31+0], v[vgprValuA_X9_I0+1+0+0], v[vgprValuB_X8_I0+0+1+0], a[16:31]
/* numPrefetchIter=0 */
/* dataAtIterA=8 numReadsIterA=10 skipReadsIterA=1 readsPerIterA=4 */
/* dataAtIterB=3 numReadsIterB=7 skipReadsIterB=0 readsPerIterB=1 */


/* iter 10 */

/*  grEndMfmaIndex:5, lwStartMfmaIndex:23, lwEndMfmaIndex:28  */
/*  numMfmaForLR:1, barrierMfmaIndex:30 */
/*  mfmaIndex:20  */
_ds_load_u16_d16_hi v81, v[vgprLocalReadAddrA] offset:11008 // L -> Reg lro=5376 swapByteOffset=0 ti=64 vIdx=0 rIdx=1 oIdx=0 buffer=11 iui=0
_ds_load_u16_d16_hi v82, v[vgprLocalReadAddrA] offset:11136 // L -> Reg lro=5376 swapByteOffset=0 ti=64 vIdx=1 rIdx=1 oIdx=0 buffer=11 iui=0
/* localReadsVacancy: latencyLeft 9 */
s_waitcnt lgkmcnt(2)                               // lgkmcnt=0 vmcnt=-1wait for prior local read local write old=0, new=2 newLW=0 newLR=2
/* pack scheduling: packAIdx:1, packBIdx:0 */
v_or_b32 v[vgprValuA_X10_I0+0], v[vgprValuA_X10_I0+0], v79 // pack two half Vgpr to one Vgpr
v_or_b32 v[vgprValuA_X10_I0+1], v[vgprValuA_X10_I0+1], v80 // pack two half Vgpr to one Vgpr
s_nop  0                                           // VALU packing writes to be consumed by matrix instruction
v_mfma_f32_32x32x4bf16 a[0+0:15+0], v[vgprValuA_X10_I0+0+0+0], v[vgprValuB_X10_I0+0+0+0], a[0:15]
/*  mfmaIndex:21  */
/* localReadsVacancy: latencyLeft 13 */
v_mfma_f32_32x32x4bf16 a[16+0:31+0], v[vgprValuA_X10_I0+1+0+0], v[vgprValuB_X10_I0+0+0+0], a[16:31]
/* numPrefetchIter=0 */
/* dataAtIterA=9 numReadsIterA=11 skipReadsIterA=1 readsPerIterA=4 */
/* dataAtIterB=4 numReadsIterB=7 skipReadsIterB=0 readsPerIterB=1 */


/* iter 11 */

/*  grEndMfmaIndex:5, lwStartMfmaIndex:23, lwEndMfmaIndex:28  */
/*  numMfmaForLR:1, barrierMfmaIndex:30 */
/*  mfmaIndex:22  */
_ds_load_u16_d16_hi v79, v[vgprLocalReadAddrA] offset:12544 // L -> Reg lro=6144 swapByteOffset=0 ti=64 vIdx=0 rIdx=1 oIdx=0 buffer=12 iui=0
_ds_load_u16_d16_hi v80, v[vgprLocalReadAddrA] offset:12672 // L -> Reg lro=6144 swapByteOffset=0 ti=64 vIdx=1 rIdx=1 oIdx=0 buffer=12 iui=0
/* localReadsVacancy: latencyLeft 9 */
s_waitcnt lgkmcnt(2)                               // lgkmcnt=0 vmcnt=-1wait for prior local read local write old=0, new=2 newLW=0 newLR=2
/* pack scheduling: packAIdx:1, packBIdx:0 */
v_or_b32 v[vgprValuA_X11_I0+0], v[vgprValuA_X11_I0+0], v81 // pack two half Vgpr to one Vgpr
v_or_b32 v[vgprValuA_X11_I0+1], v[vgprValuA_X11_I0+1], v82 // pack two half Vgpr to one Vgpr
s_nop  0                                           // VALU packing writes to be consumed by matrix instruction
v_mfma_f32_32x32x4bf16 a[0+0:15+0], v[vgprValuA_X11_I0+0+0+0], v[vgprValuB_X10_I0+0+1+0], a[0:15]
/*  mfmaIndex:23  */
/* localReadsVacancy: latencyLeft 3 */
/* sched write - iter 11 writesPerItem=1 */
s_waitcnt vmcnt(0)                                 // lgkmcnt=-1 vmcnt=0wait for global read before writing to local
_ds_store_b128 v[vgprLocalWriteAddrA], v[vgprG2LA+0:vgprG2LA+0+3] offset:32768 // lwoA_0_0_0_0 = (0*LSCA) + (0*LSPA)(*MT0I+PAD) = 32768
v_mfma_f32_32x32x4bf16 a[16+0:31+0], v[vgprValuA_X11_I0+1+0+0], v[vgprValuB_X10_I0+0+1+0], a[16:31]
/* numPrefetchIter=0 */
/* dataAtIterA=10 numReadsIterA=12 skipReadsIterA=1 readsPerIterA=4 */
/* dataAtIterB=4 numReadsIterB=7 skipReadsIterB=0 readsPerIterB=1 */


/* iter 12 */

/*  grEndMfmaIndex:5, lwStartMfmaIndex:23, lwEndMfmaIndex:28  */
/*  numMfmaForLR:1, barrierMfmaIndex:30 */
/*  mfmaIndex:24  */
_ds_load_u16_d16_hi v81, v[vgprLocalReadAddrA] offset:13056 // L -> Reg lro=6400 swapByteOffset=0 ti=64 vIdx=0 rIdx=1 oIdx=0 buffer=13 iui=0
/* sched write - iter 12 writesPerItem=1 */
s_waitcnt vmcnt(0)                                 // lgkmcnt=-1 vmcnt=0wait for global read before writing to local
_ds_store_b128 v[vgprLocalWriteAddrA], v[vgprG2LA+4:vgprG2LA+4+3] offset:33792 // lwoA_0_0_1_0 = (0*LSCA) + (1*LSPA)(*MT0I+PAD) = 33792
s_waitcnt lgkmcnt(3)                               // lgkmcnt=0 vmcnt=-1wait for prior local read local write old=0, new=3 newLW=2 newLR=1
/* pack scheduling: packAIdx:1, packBIdx:0 */
v_or_b32 v[vgprValuA_X12_I0+0], v[vgprValuA_X12_I0+0], v79 // pack two half Vgpr to one Vgpr
v_or_b32 v[vgprValuA_X12_I0+1], v[vgprValuA_X12_I0+1], v80 // pack two half Vgpr to one Vgpr
s_nop  0                                           // VALU packing writes to be consumed by matrix instruction
v_mfma_f32_32x32x4bf16 a[0+0:15+0], v[vgprValuA_X12_I0+0+0+0], v[vgprValuB_X12_I0+0+0+0], a[0:15]
/*  mfmaIndex:25  */
_ds_load_u16_d16_hi v82, v[vgprLocalReadAddrA] offset:13184 // L -> Reg lro=6400 swapByteOffset=0 ti=64 vIdx=1 rIdx=1 oIdx=0 buffer=13 iui=0
/* localReadsVacancy: latencyLeft 1 */
/* sched write - iter 12 writesPerItem=1 */
s_waitcnt vmcnt(0)                                 // lgkmcnt=-1 vmcnt=0wait for global read before writing to local
_ds_store_b128 v[vgprLocalWriteAddrA], v[vgprG2LA+8:vgprG2LA+8+3] offset:34816 // lwoA_0_0_2_0 = (0*LSCA) + (2*LSPA)(*MT0I+PAD) = 34816
v_mfma_f32_32x32x4bf16 a[16+0:31+0], v[vgprValuA_X12_I0+1+0+0], v[vgprValuB_X12_I0+0+0+0], a[16:31]
/* numPrefetchIter=0 */
/* dataAtIterA=11 numReadsIterA=13 skipReadsIterA=1 readsPerIterA=4 */
/* dataAtIterB=5 numReadsIterB=7 skipReadsIterB=0 readsPerIterB=1 */


/* iter 13 */

/*  grEndMfmaIndex:5, lwStartMfmaIndex:23, lwEndMfmaIndex:28  */
/*  numMfmaForLR:1, barrierMfmaIndex:30 */
/*  mfmaIndex:26  */
_ds_load_u16_d16_hi v79, v[vgprLocalReadAddrA] offset:14592 // L -> Reg lro=7168 swapByteOffset=0 ti=64 vIdx=0 rIdx=1 oIdx=0 buffer=14 iui=0
/* sched write - iter 13 writesPerItem=1 */
s_waitcnt vmcnt(0)                                 // lgkmcnt=-1 vmcnt=0wait for global read before writing to local
_ds_store_b128 v[vgprLocalWriteAddrA], v[vgprG2LA+12:vgprG2LA+12+3] offset:35840 // lwoA_0_0_3_0 = (0*LSCA) + (3*LSPA)(*MT0I+PAD) = 35840
s_waitcnt lgkmcnt(3)                               // lgkmcnt=0 vmcnt=-1wait for prior local read local write old=0, new=3 newLW=2 newLR=1
/* pack scheduling: packAIdx:1, packBIdx:0 */
v_or_b32 v[vgprValuA_X13_I0+0], v[vgprValuA_X13_I0+0], v81 // pack two half Vgpr to one Vgpr
v_or_b32 v[vgprValuA_X13_I0+1], v[vgprValuA_X13_I0+1], v82 // pack two half Vgpr to one Vgpr
s_nop  0                                           // VALU packing writes to be consumed by matrix instruction
v_mfma_f32_32x32x4bf16 a[0+0:15+0], v[vgprValuA_X13_I0+0+0+0], v[vgprValuB_X12_I0+0+1+0], a[0:15]
/*  mfmaIndex:27  */
_ds_load_u16_d16_hi v80, v[vgprLocalReadAddrA] offset:14720 // L -> Reg lro=7168 swapByteOffset=0 ti=64 vIdx=1 rIdx=1 oIdx=0 buffer=14 iui=0
/* localReadsVacancy: latencyLeft 1 */
/* sched write - iter 13 writesPerItem=1 */
s_waitcnt vmcnt(0)                                 // lgkmcnt=-1 vmcnt=0wait for global read before writing to local
_ds_store_b128 v[vgprLocalWriteAddrB], v[vgprG2LB+0:vgprG2LB+0+3] offset:32768 // lwoB_0_0_0_0 = (0*LSCB)*(MT1J+PAD) + (0*LSPB) = 32768
v_mfma_f32_32x32x4bf16 a[16+0:31+0], v[vgprValuA_X13_I0+1+0+0], v[vgprValuB_X12_I0+0+1+0], a[16:31]
/* numPrefetchIter=0 */
/* dataAtIterA=12 numReadsIterA=14 skipReadsIterA=1 readsPerIterA=4 */
/* dataAtIterB=5 numReadsIterB=7 skipReadsIterB=0 readsPerIterB=1 */


/* iter 14 (reset local read pointers iteration)  (swap and reset local write pointers iteration)  (swap local read pointers iteration)  */

/*  grEndMfmaIndex:5, lwStartMfmaIndex:23, lwEndMfmaIndex:28  */
/*  numMfmaForLR:1, barrierMfmaIndex:30 */
/*  mfmaIndex:28  */
_ds_load_u16_d16_hi v81, v[vgprLocalReadAddrA] offset:15104 // L -> Reg lro=7424 swapByteOffset=0 ti=64 vIdx=0 rIdx=1 oIdx=0 buffer=15 iui=0
/* sched write - iter 14 writesPerItem=1 */
s_waitcnt vmcnt(0)                                 // lgkmcnt=-1 vmcnt=0wait for global read before writing to local
_ds_store_b128 v[vgprLocalWriteAddrB], v[vgprG2LB+4:vgprG2LB+4+3] offset:33920 // lwoB_0_0_1_0 = (0*LSCB)*(MT1J+PAD) + (1*LSPB) = 33920

/* local write swap offsets a */

/* (EPS=1) local write swap internal offset -> 0 */

/* local write swap offsets b */

/* (EPS=1) local write swap internal offset -> 0 */
s_waitcnt lgkmcnt(3)                               // lgkmcnt=0 vmcnt=-1wait for prior local read local write old=0, new=3 newLW=2 newLR=1
/* pack scheduling: packAIdx:1, packBIdx:0 */
v_or_b32 v[vgprValuA_X14_I0+0], v[vgprValuA_X14_I0+0], v79 // pack two half Vgpr to one Vgpr
v_or_b32 v[vgprValuA_X14_I0+1], v[vgprValuA_X14_I0+1], v80 // pack two half Vgpr to one Vgpr
s_nop  0                                           // VALU packing writes to be consumed by matrix instruction
v_mfma_f32_32x32x4bf16 a[0+0:15+0], v[vgprValuA_X14_I0+0+0+0], v[vgprValuB_X14_I0+0+0+0], a[0:15]
/*  mfmaIndex:29  */
_ds_load_u16_d16_hi v82, v[vgprLocalReadAddrA] offset:15232 // L -> Reg lro=7424 swapByteOffset=0 ti=64 vIdx=1 rIdx=1 oIdx=0 buffer=15 iui=0
/* localReadsVacancy: latencyLeft 11 */

/* local read swap offsets a */

/* local read swap internal offset -> 32768 */

/* local read swap offsets b */

/* local read swap internal offset -> 32768 */

/* local read init pointers a */

/* localReadInitPointers */

/* local read init pointers b */

/* localReadInitPointers */
v_mfma_f32_32x32x4bf16 a[16+0:31+0], v[vgprValuA_X14_I0+1+0+0], v[vgprValuB_X14_I0+0+0+0], a[16:31]
/* numPrefetchIter=0 */
/* dataAtIterA=13 numReadsIterA=15 skipReadsIterA=1 readsPerIterA=4 */
/* dataAtIterB=6 numReadsIterB=7 skipReadsIterB=0 readsPerIterB=1 */


/* iter 15 */

/*  grEndMfmaIndex:5, lwStartMfmaIndex:23, lwEndMfmaIndex:28  */
/*  numMfmaForLR:1, barrierMfmaIndex:30 */
/*  mfmaIndex:30  */
s_waitcnt lgkmcnt(0)                               // lgkmcnt=0 vmcnt=-13wait for local write
s_waitcnt lgkmcnt(0) & vmcnt(0)                    // force waitcnt0
s_barrier //
s_waitcnt lgkmcnt(0)                               // lgkmcnt=0 vmcnt=-1wait for prior local read local write old=0, new=0 newLW=0 newLR=0
/* pack scheduling: packAIdx:1, packBIdx:0 */
v_or_b32 v[vgprValuA_X15_I0+0], v[vgprValuA_X15_I0+0], v81 // pack two half Vgpr to one Vgpr
v_or_b32 v[vgprValuA_X15_I0+1], v[vgprValuA_X15_I0+1], v82 // pack two half Vgpr to one Vgpr
s_nop  0                                           // VALU packing writes to be consumed by matrix instruction
v_mfma_f32_32x32x4bf16 a[0+0:15+0], v[vgprValuA_X15_I0+0+0+0], v[vgprValuB_X14_I0+0+1+0], a[0:15]
/*  mfmaIndex:31  */
_ds_load_u16 v[vgprValuA_X0_I0+0], v[vgprLocalReadAddrA] offset:32768 // L -> Reg lro=0 swapByteOffset=32768 ti=64 vIdx=0 rIdx=0 oIdx=0 buffer=0 iui=0
_ds_load_u16_d16_hi v79, v[vgprLocalReadAddrA] offset:33024 // L -> Reg lro=0 swapByteOffset=32768 ti=64 vIdx=0 rIdx=1 oIdx=0 buffer=0 iui=0
_ds_load_b64 v[vgprValuB_X0_I0+0:vgprValuB_X0_I0+0+1], v[vgprLocalReadAddrB] offset:32768 // L -> Reg lro=0 swapByteOffset=32768 ti=64 vIdx=0 rIdx=0 oIdx=0 buffer=0 iui=0
_ds_load_u16 v[vgprValuA_X0_I0+1], v[vgprLocalReadAddrA] offset:32896 // L -> Reg lro=0 swapByteOffset=32768 ti=64 vIdx=1 rIdx=0 oIdx=0 buffer=0 iui=0
_ds_load_u16_d16_hi v80, v[vgprLocalReadAddrA] offset:33152 // L -> Reg lro=0 swapByteOffset=32768 ti=64 vIdx=1 rIdx=1 oIdx=0 buffer=0 iui=0
v_mfma_f32_32x32x4bf16 a[16+0:31+0], v[vgprValuA_X15_I0+1+0+0], v[vgprValuB_X14_I0+0+1+0], a[16:31]
/* numPrefetchIter=1 */
/* dataAtIterA=14 numReadsIterA=15 skipReadsIterA=1 readsPerIterA=4 */
/* dataAtIterB=6 numReadsIterB=7 skipReadsIterB=1 readsPerIterB=1 */


/******************************************/
/* Unrolled Loop - End 1/2                */
/******************************************/


/* closeLoop loopL finalLoop=0 tailLoop=0 */
s_sub_u32 s[sgprLoopCounterL], s[sgprLoopCounterL], 1 // dec counterL
s_cmp_eq_i32 s[sgprLoopCounterL], 0x1              // counterL==1
s_cbranch_scc1 LoopEndL_oddexit_3                  // exit LoopL


/******************************************/
/* Unrolled Loop 2/2 - Begin              */
/******************************************/

label_0014: // LoopCopy2 


/* Begin Each Unroll: Check VGPR.checkin for INT8 LW */


	;; [unrolled: 1-line block ×3, first 2 shown]
/* iter 0 */

/*  grEndMfmaIndex:5, lwStartMfmaIndex:23, lwEndMfmaIndex:28  */
/*  numMfmaForLR:1, barrierMfmaIndex:30 */
/*  mfmaIndex:0  */
_buffer_load_b128 v[vgprG2LA+0:vgprG2LA+0+3], v[vgprGlobalReadOffsetA+0], s[sgprSrdA:sgprSrdA+3], 0, offen offset:0 // G -> Reg 0_0_0_0
s_waitcnt lgkmcnt(0)                               // lgkmcnt=0 vmcnt=-1wait for prior local read local write old=0, new=0 newLW=0 newLR=0
/* pack scheduling: packAIdx:1, packBIdx:0 */
v_or_b32 v[vgprValuA_X0_I0+0], v[vgprValuA_X0_I0+0], v79 // pack two half Vgpr to one Vgpr
v_or_b32 v[vgprValuA_X0_I0+1], v[vgprValuA_X0_I0+1], v80 // pack two half Vgpr to one Vgpr
s_nop  0                                           // VALU packing writes to be consumed by matrix instruction
v_mfma_f32_32x32x4bf16 a[0+0:15+0], v[vgprValuA_X0_I0+0+0+0], v[vgprValuB_X0_I0+0+0+0], a[0:15]
/*  mfmaIndex:1  */
_ds_load_u16 v[vgprValuA_X1_I0+0], v[vgprLocalReadAddrA] offset:33280 // L -> Reg lro=256 swapByteOffset=32768 ti=64 vIdx=0 rIdx=0 oIdx=0 buffer=1 iui=0
_ds_load_u16_d16_hi v81, v[vgprLocalReadAddrA] offset:33536 // L -> Reg lro=256 swapByteOffset=32768 ti=64 vIdx=0 rIdx=1 oIdx=0 buffer=1 iui=0
_ds_load_b64 v[vgprValuB_X2_I0+0:vgprValuB_X2_I0+0+1], v[vgprLocalReadAddrB] offset:32784 // L -> Reg lro=8 swapByteOffset=32768 ti=64 vIdx=0 rIdx=0 oIdx=0 buffer=2 iui=0
_ds_load_u16 v[vgprValuA_X1_I0+1], v[vgprLocalReadAddrA] offset:33408 // L -> Reg lro=256 swapByteOffset=32768 ti=64 vIdx=1 rIdx=0 oIdx=0 buffer=1 iui=0
_ds_load_u16_d16_hi v82, v[vgprLocalReadAddrA] offset:33664 // L -> Reg lro=256 swapByteOffset=32768 ti=64 vIdx=1 rIdx=1 oIdx=0 buffer=1 iui=0
/* localReadsVacancy: latencyLeft 3 */
_ds_load_u16 v[vgprValuA_X2_I0+0], v[vgprLocalReadAddrA] offset:34816 // L -> Reg lro=1024 swapByteOffset=32768 ti=64 vIdx=0 rIdx=0 oIdx=0 buffer=2 iui=0
_buffer_load_b128 v[vgprG2LA+4:vgprG2LA+4+3], v[vgprGlobalReadOffsetA+0], s[sgprSrdA:sgprSrdA+3], s[sgprScalarGlobalReadOffsetA+0], offen offset:0 // G -> Reg 0_0_1_0
v_mfma_f32_32x32x4bf16 a[16+0:31+0], v[vgprValuA_X0_I0+1+0+0], v[vgprValuB_X0_I0+0+0+0], a[16:31]
/* numPrefetchIter=0 */
/* dataAtIterA=-1 numReadsIterA=1 skipReadsIterA=1 readsPerIterA=4 */
/* dataAtIterB=-1 numReadsIterB=1 skipReadsIterB=1 readsPerIterB=1 */


/* iter 1 */

/*  grEndMfmaIndex:5, lwStartMfmaIndex:23, lwEndMfmaIndex:28  */
/*  numMfmaForLR:1, barrierMfmaIndex:30 */
/*  mfmaIndex:2  */
_ds_load_u16_d16_hi v79, v[vgprLocalReadAddrA] offset:35072 // L -> Reg lro=1024 swapByteOffset=32768 ti=64 vIdx=0 rIdx=1 oIdx=0 buffer=2 iui=0
_ds_load_b64 v[vgprValuB_X4_I0+0:vgprValuB_X4_I0+0+1], v[vgprLocalReadAddrB] offset:32800 // L -> Reg lro=16 swapByteOffset=32768 ti=64 vIdx=0 rIdx=0 oIdx=0 buffer=4 iui=0
_ds_load_u16 v[vgprValuA_X2_I0+1], v[vgprLocalReadAddrA] offset:34944 // L -> Reg lro=1024 swapByteOffset=32768 ti=64 vIdx=1 rIdx=0 oIdx=0 buffer=2 iui=0
_ds_load_u16_d16_hi v80, v[vgprLocalReadAddrA] offset:35200 // L -> Reg lro=1024 swapByteOffset=32768 ti=64 vIdx=1 rIdx=1 oIdx=0 buffer=2 iui=0
/* localReadsVacancy: latencyLeft 5 */
_ds_load_u16 v[vgprValuA_X3_I0+0], v[vgprLocalReadAddrA] offset:35328 // L -> Reg lro=1280 swapByteOffset=32768 ti=64 vIdx=0 rIdx=0 oIdx=0 buffer=3 iui=0
_ds_load_b64 v[vgprValuB_X6_I0+0:vgprValuB_X6_I0+0+1], v[vgprLocalReadAddrB] offset:32816 // L -> Reg lro=24 swapByteOffset=32768 ti=64 vIdx=0 rIdx=0 oIdx=0 buffer=6 iui=0
_buffer_load_b128 v[vgprG2LA+8:vgprG2LA+8+3], v[vgprGlobalReadOffsetA+0], s[sgprSrdA:sgprSrdA+3], s[sgprScalarGlobalReadOffsetA+1], offen offset:0 // G -> Reg 0_0_2_0
s_waitcnt lgkmcnt(7)                               // lgkmcnt=0 vmcnt=-1wait for prior local read local write old=1, new=5 newLW=0 newLR=4
/* pack scheduling: packAIdx:1, packBIdx:0 */
v_or_b32 v[vgprValuA_X1_I0+0], v[vgprValuA_X1_I0+0], v81 // pack two half Vgpr to one Vgpr
v_or_b32 v[vgprValuA_X1_I0+1], v[vgprValuA_X1_I0+1], v82 // pack two half Vgpr to one Vgpr
s_nop  0                                           // VALU packing writes to be consumed by matrix instruction
v_mfma_f32_32x32x4bf16 a[0+0:15+0], v[vgprValuA_X1_I0+0+0+0], v[vgprValuB_X0_I0+0+1+0], a[0:15]
/*  mfmaIndex:3  */
/* localReadsVacancy: latencyLeft 13 */
_ds_load_u16 v[vgprValuA_X3_I0+1], v[vgprLocalReadAddrA] offset:35456 // L -> Reg lro=1280 swapByteOffset=32768 ti=64 vIdx=1 rIdx=0 oIdx=0 buffer=3 iui=0
_ds_load_u16 v[vgprValuA_X4_I0+0], v[vgprLocalReadAddrA] offset:36864 // L -> Reg lro=2048 swapByteOffset=32768 ti=64 vIdx=0 rIdx=0 oIdx=0 buffer=4 iui=0
_ds_load_b64 v[vgprValuB_X8_I0+0:vgprValuB_X8_I0+0+1], v[vgprLocalReadAddrB] offset:32832 // L -> Reg lro=32 swapByteOffset=32768 ti=64 vIdx=0 rIdx=0 oIdx=0 buffer=8 iui=0
_ds_load_u16 v[vgprValuA_X4_I0+1], v[vgprLocalReadAddrA] offset:36992 // L -> Reg lro=2048 swapByteOffset=32768 ti=64 vIdx=1 rIdx=0 oIdx=0 buffer=4 iui=0
_ds_load_u16 v[vgprValuA_X5_I0+0], v[vgprLocalReadAddrA] offset:37376 // L -> Reg lro=2304 swapByteOffset=32768 ti=64 vIdx=0 rIdx=0 oIdx=0 buffer=5 iui=0
_ds_load_b64 v[vgprValuB_X10_I0+0:vgprValuB_X10_I0+0+1], v[vgprLocalReadAddrB] offset:32848 // L -> Reg lro=40 swapByteOffset=32768 ti=64 vIdx=0 rIdx=0 oIdx=0 buffer=10 iui=0
_buffer_load_b128 v[vgprG2LA+12:vgprG2LA+12+3], v[vgprGlobalReadOffsetA+0], s[sgprSrdA:sgprSrdA+3], s[sgprScalarGlobalReadOffsetA+2], offen offset:0 // G -> Reg 0_0_3_0
v_mfma_f32_32x32x4bf16 a[16+0:31+0], v[vgprValuA_X1_I0+1+0+0], v[vgprValuB_X0_I0+0+1+0], a[16:31]
/* numPrefetchIter=0 */
/* dataAtIterA=0 numReadsIterA=2 skipReadsIterA=1 readsPerIterA=4 */
/* dataAtIterB=-1 numReadsIterB=2 skipReadsIterB=0 readsPerIterB=1 */


/* iter 2 */

/*  grEndMfmaIndex:5, lwStartMfmaIndex:23, lwEndMfmaIndex:28  */
/*  numMfmaForLR:1, barrierMfmaIndex:30 */
/*  mfmaIndex:4  */
_ds_load_u16_d16_hi v81, v[vgprLocalReadAddrA] offset:35584 // L -> Reg lro=1280 swapByteOffset=32768 ti=64 vIdx=0 rIdx=1 oIdx=0 buffer=3 iui=0
_ds_load_u16_d16_hi v82, v[vgprLocalReadAddrA] offset:35712 // L -> Reg lro=1280 swapByteOffset=32768 ti=64 vIdx=1 rIdx=1 oIdx=0 buffer=3 iui=0
/* localReadsVacancy: latencyLeft 9 */
_ds_load_u16 v[vgprValuA_X5_I0+1], v[vgprLocalReadAddrA] offset:37504 // L -> Reg lro=2304 swapByteOffset=32768 ti=64 vIdx=1 rIdx=0 oIdx=0 buffer=5 iui=0
_ds_load_u16 v[vgprValuA_X6_I0+0], v[vgprLocalReadAddrA] offset:38912 // L -> Reg lro=3072 swapByteOffset=32768 ti=64 vIdx=0 rIdx=0 oIdx=0 buffer=6 iui=0
_ds_load_b64 v[vgprValuB_X12_I0+0:vgprValuB_X12_I0+0+1], v[vgprLocalReadAddrB] offset:32864 // L -> Reg lro=48 swapByteOffset=32768 ti=64 vIdx=0 rIdx=0 oIdx=0 buffer=12 iui=0
_ds_load_u16 v[vgprValuA_X6_I0+1], v[vgprLocalReadAddrA] offset:39040 // L -> Reg lro=3072 swapByteOffset=32768 ti=64 vIdx=1 rIdx=0 oIdx=0 buffer=6 iui=0
_buffer_load_b128 v[vgprG2LB+0:vgprG2LB+0+3], v[vgprGlobalReadOffsetB+0], s[sgprSrdB:sgprSrdB+3], 0, offen offset:0 // G -> Reg 0_0_0_0
s_waitcnt lgkmcnt(14)                              // lgkmcnt=0 vmcnt=-1wait for prior local read local write old=3, new=5 newLW=0 newLR=2
/* pack scheduling: packAIdx:1, packBIdx:0 */
v_or_b32 v[vgprValuA_X2_I0+0], v[vgprValuA_X2_I0+0], v79 // pack two half Vgpr to one Vgpr
v_or_b32 v[vgprValuA_X2_I0+1], v[vgprValuA_X2_I0+1], v80 // pack two half Vgpr to one Vgpr
s_nop  0                                           // VALU packing writes to be consumed by matrix instruction
v_mfma_f32_32x32x4bf16 a[0+0:15+0], v[vgprValuA_X2_I0+0+0+0], v[vgprValuB_X2_I0+0+0+0], a[0:15]
/*  mfmaIndex:5  */
/* localReadsVacancy: latencyLeft 13 */
_ds_load_u16 v[vgprValuA_X7_I0+0], v[vgprLocalReadAddrA] offset:39424 // L -> Reg lro=3328 swapByteOffset=32768 ti=64 vIdx=0 rIdx=0 oIdx=0 buffer=7 iui=0
_ds_load_b64 v[vgprValuB_X14_I0+0:vgprValuB_X14_I0+0+1], v[vgprLocalReadAddrB] offset:32880 // L -> Reg lro=56 swapByteOffset=32768 ti=64 vIdx=0 rIdx=0 oIdx=0 buffer=14 iui=0
_ds_load_u16 v[vgprValuA_X7_I0+1], v[vgprLocalReadAddrA] offset:39552 // L -> Reg lro=3328 swapByteOffset=32768 ti=64 vIdx=1 rIdx=0 oIdx=0 buffer=7 iui=0
_ds_load_u16 v[vgprValuA_X8_I0+0], v[vgprLocalReadAddrA] offset:40960 // L -> Reg lro=4096 swapByteOffset=32768 ti=64 vIdx=0 rIdx=0 oIdx=0 buffer=8 iui=0
_ds_load_u16 v[vgprValuA_X8_I0+1], v[vgprLocalReadAddrA] offset:41088 // L -> Reg lro=4096 swapByteOffset=32768 ti=64 vIdx=1 rIdx=0 oIdx=0 buffer=8 iui=0
_ds_load_u16 v[vgprValuA_X9_I0+0], v[vgprLocalReadAddrA] offset:41472 // L -> Reg lro=4352 swapByteOffset=32768 ti=64 vIdx=0 rIdx=0 oIdx=0 buffer=9 iui=0
_buffer_load_b128 v[vgprG2LB+4:vgprG2LB+4+3], v[vgprGlobalReadOffsetB+0], s[sgprSrdB:sgprSrdB+3], s[sgprScalarGlobalReadOffsetB+0], offen offset:0 // G -> Reg 0_0_1_0
v_mfma_f32_32x32x4bf16 a[16+0:31+0], v[vgprValuA_X2_I0+1+0+0], v[vgprValuB_X2_I0+0+0+0], a[16:31]
/* numPrefetchIter=0 */
/* dataAtIterA=1 numReadsIterA=3 skipReadsIterA=1 readsPerIterA=4 */
/* dataAtIterB=0 numReadsIterB=3 skipReadsIterB=0 readsPerIterB=1 */


/* iter 3 */

/*  grEndMfmaIndex:5, lwStartMfmaIndex:23, lwEndMfmaIndex:28  */
/*  numMfmaForLR:1, barrierMfmaIndex:30 */
/*  mfmaIndex:6  */
_ds_load_u16_d16_hi v79, v[vgprLocalReadAddrA] offset:37120 // L -> Reg lro=2048 swapByteOffset=32768 ti=64 vIdx=0 rIdx=1 oIdx=0 buffer=4 iui=0
_ds_load_u16_d16_hi v80, v[vgprLocalReadAddrA] offset:37248 // L -> Reg lro=2048 swapByteOffset=32768 ti=64 vIdx=1 rIdx=1 oIdx=0 buffer=4 iui=0
/* localReadsVacancy: latencyLeft 9 */
_ds_load_u16 v[vgprValuA_X9_I0+1], v[vgprLocalReadAddrA] offset:41600 // L -> Reg lro=4352 swapByteOffset=32768 ti=64 vIdx=1 rIdx=0 oIdx=0 buffer=9 iui=0
_ds_load_u16 v[vgprValuA_X10_I0+0], v[vgprLocalReadAddrA] offset:43008 // L -> Reg lro=5120 swapByteOffset=32768 ti=64 vIdx=0 rIdx=0 oIdx=0 buffer=10 iui=0
_ds_load_u16 v[vgprValuA_X10_I0+1], v[vgprLocalReadAddrA] offset:43136 // L -> Reg lro=5120 swapByteOffset=32768 ti=64 vIdx=1 rIdx=0 oIdx=0 buffer=10 iui=0
_ds_load_u16 v[vgprValuA_X11_I0+0], v[vgprLocalReadAddrA] offset:43520 // L -> Reg lro=5376 swapByteOffset=32768 ti=64 vIdx=0 rIdx=0 oIdx=0 buffer=11 iui=0

/* global read inc A loopL */
s_add_u32 s[sgprSrdA+0], s[sgprSrdA+0], s[sgprGlobalReadIncsA+0] // gra SRD += inc(lower)
s_addc_u32  s[sgprSrdA+1], s[sgprSrdA+1], 0        // gra SRD += inc(upper)
s_sub_u32 s[sgprShadowLimitA+0], s[sgprShadowLimitA+0], s[sgprGlobalReadIncsA+0] // limit -= inc)
s_subb_u32 s[sgprShadowLimitA+1], s[sgprShadowLimitA+1], 0 // limit -= inc)
s_cmp_eq_u32 s[sgprShadowLimitA+1], 0              // are we within 2^32?
s_cmov_b32 s[sgprSrdA+2], s[sgprShadowLimitA+0]    // Move shadow to real if we are within 2^32

/* global read inc B loopL */
s_add_u32 s[sgprSrdB+0], s[sgprSrdB+0], s[sgprGlobalReadIncsB+0] // gra SRD += inc(lower)
s_waitcnt lgkmcnt(15)                              // lgkmcnt=0 vmcnt=-1wait for prior local read local write old=0, new=2 newLW=0 newLR=2
/* pack scheduling: packAIdx:1, packBIdx:0 */
v_or_b32 v[vgprValuA_X3_I0+0], v[vgprValuA_X3_I0+0], v81 // pack two half Vgpr to one Vgpr
v_or_b32 v[vgprValuA_X3_I0+1], v[vgprValuA_X3_I0+1], v82 // pack two half Vgpr to one Vgpr
s_nop  0                                           // VALU packing writes to be consumed by matrix instruction
v_mfma_f32_32x32x4bf16 a[0+0:15+0], v[vgprValuA_X3_I0+0+0+0], v[vgprValuB_X2_I0+0+1+0], a[0:15]
/*  mfmaIndex:7  */
/* localReadsVacancy: latencyLeft 13 */
_ds_load_u16 v[vgprValuA_X11_I0+1], v[vgprLocalReadAddrA] offset:43648 // L -> Reg lro=5376 swapByteOffset=32768 ti=64 vIdx=1 rIdx=0 oIdx=0 buffer=11 iui=0
_ds_load_u16 v[vgprValuA_X12_I0+0], v[vgprLocalReadAddrA] offset:45056 // L -> Reg lro=6144 swapByteOffset=32768 ti=64 vIdx=0 rIdx=0 oIdx=0 buffer=12 iui=0
_ds_load_u16 v[vgprValuA_X12_I0+1], v[vgprLocalReadAddrA] offset:45184 // L -> Reg lro=6144 swapByteOffset=32768 ti=64 vIdx=1 rIdx=0 oIdx=0 buffer=12 iui=0
_ds_load_u16 v[vgprValuA_X13_I0+0], v[vgprLocalReadAddrA] offset:45568 // L -> Reg lro=6400 swapByteOffset=32768 ti=64 vIdx=0 rIdx=0 oIdx=0 buffer=13 iui=0
_ds_load_u16 v[vgprValuA_X13_I0+1], v[vgprLocalReadAddrA] offset:45696 // L -> Reg lro=6400 swapByteOffset=32768 ti=64 vIdx=1 rIdx=0 oIdx=0 buffer=13 iui=0
_ds_load_u16 v[vgprValuA_X14_I0+0], v[vgprLocalReadAddrA] offset:47104 // L -> Reg lro=7168 swapByteOffset=32768 ti=64 vIdx=0 rIdx=0 oIdx=0 buffer=14 iui=0
s_addc_u32  s[sgprSrdB+1], s[sgprSrdB+1], 0        // gra SRD += inc(upper)
s_sub_u32 s[sgprShadowLimitB+0], s[sgprShadowLimitB+0], s[sgprGlobalReadIncsB+0] // limit -= inc)
s_subb_u32 s[sgprShadowLimitB+1], s[sgprShadowLimitB+1], 0 // limit -= inc)
s_cmp_eq_u32 s[sgprShadowLimitB+1], 0              // are we within 2^32?
s_cmov_b32 s[sgprSrdB+2], s[sgprShadowLimitB+0]    // Move shadow to real if we are within 2^32
v_mfma_f32_32x32x4bf16 a[16+0:31+0], v[vgprValuA_X3_I0+1+0+0], v[vgprValuB_X2_I0+0+1+0], a[16:31]
/* numPrefetchIter=0 */
/* dataAtIterA=2 numReadsIterA=4 skipReadsIterA=1 readsPerIterA=4 */
/* dataAtIterB=0 numReadsIterB=4 skipReadsIterB=0 readsPerIterB=1 */


/* iter 4 */

/*  grEndMfmaIndex:5, lwStartMfmaIndex:23, lwEndMfmaIndex:28  */
/*  numMfmaForLR:1, barrierMfmaIndex:30 */
/*  mfmaIndex:8  */
_ds_load_u16_d16_hi v81, v[vgprLocalReadAddrA] offset:37632 // L -> Reg lro=2304 swapByteOffset=32768 ti=64 vIdx=0 rIdx=1 oIdx=0 buffer=5 iui=0
_ds_load_u16_d16_hi v82, v[vgprLocalReadAddrA] offset:37760 // L -> Reg lro=2304 swapByteOffset=32768 ti=64 vIdx=1 rIdx=1 oIdx=0 buffer=5 iui=0
/* localReadsVacancy: latencyLeft 9 */
_ds_load_u16 v[vgprValuA_X14_I0+1], v[vgprLocalReadAddrA] offset:47232 // L -> Reg lro=7168 swapByteOffset=32768 ti=64 vIdx=1 rIdx=0 oIdx=0 buffer=14 iui=0
_ds_load_u16 v[vgprValuA_X15_I0+0], v[vgprLocalReadAddrA] offset:47616 // L -> Reg lro=7424 swapByteOffset=32768 ti=64 vIdx=0 rIdx=0 oIdx=0 buffer=15 iui=0
_ds_load_u16 v[vgprValuA_X15_I0+1], v[vgprLocalReadAddrA] offset:47744 // L -> Reg lro=7424 swapByteOffset=32768 ti=64 vIdx=1 rIdx=0 oIdx=0 buffer=15 iui=0
s_waitcnt lgkmcnt(15)                              // lgkmcnt=0 vmcnt=-1wait for prior local read local write old=0, new=2 newLW=0 newLR=2
/* pack scheduling: packAIdx:1, packBIdx:0 */
v_or_b32 v[vgprValuA_X4_I0+0], v[vgprValuA_X4_I0+0], v79 // pack two half Vgpr to one Vgpr
v_or_b32 v[vgprValuA_X4_I0+1], v[vgprValuA_X4_I0+1], v80 // pack two half Vgpr to one Vgpr
s_nop  0                                           // VALU packing writes to be consumed by matrix instruction
v_mfma_f32_32x32x4bf16 a[0+0:15+0], v[vgprValuA_X4_I0+0+0+0], v[vgprValuB_X4_I0+0+0+0], a[0:15]
/*  mfmaIndex:9  */
/* localReadsVacancy: latencyLeft 13 */
v_mfma_f32_32x32x4bf16 a[16+0:31+0], v[vgprValuA_X4_I0+1+0+0], v[vgprValuB_X4_I0+0+0+0], a[16:31]
/* numPrefetchIter=0 */
/* dataAtIterA=3 numReadsIterA=5 skipReadsIterA=1 readsPerIterA=4 */
/* dataAtIterB=1 numReadsIterB=5 skipReadsIterB=0 readsPerIterB=1 */


/* iter 5 */

/*  grEndMfmaIndex:5, lwStartMfmaIndex:23, lwEndMfmaIndex:28  */
/*  numMfmaForLR:1, barrierMfmaIndex:30 */
/*  mfmaIndex:10  */
_ds_load_u16_d16_hi v79, v[vgprLocalReadAddrA] offset:39168 // L -> Reg lro=3072 swapByteOffset=32768 ti=64 vIdx=0 rIdx=1 oIdx=0 buffer=6 iui=0
_ds_load_u16_d16_hi v80, v[vgprLocalReadAddrA] offset:39296 // L -> Reg lro=3072 swapByteOffset=32768 ti=64 vIdx=1 rIdx=1 oIdx=0 buffer=6 iui=0
/* localReadsVacancy: latencyLeft 9 */
s_waitcnt lgkmcnt(5)                               // lgkmcnt=0 vmcnt=-1wait for prior local read local write old=0, new=2 newLW=0 newLR=2
/* pack scheduling: packAIdx:1, packBIdx:0 */
v_or_b32 v[vgprValuA_X5_I0+0], v[vgprValuA_X5_I0+0], v81 // pack two half Vgpr to one Vgpr
v_or_b32 v[vgprValuA_X5_I0+1], v[vgprValuA_X5_I0+1], v82 // pack two half Vgpr to one Vgpr
s_nop  0                                           // VALU packing writes to be consumed by matrix instruction
v_mfma_f32_32x32x4bf16 a[0+0:15+0], v[vgprValuA_X5_I0+0+0+0], v[vgprValuB_X4_I0+0+1+0], a[0:15]
/*  mfmaIndex:11  */
/* localReadsVacancy: latencyLeft 13 */
v_mfma_f32_32x32x4bf16 a[16+0:31+0], v[vgprValuA_X5_I0+1+0+0], v[vgprValuB_X4_I0+0+1+0], a[16:31]
/* numPrefetchIter=0 */
/* dataAtIterA=4 numReadsIterA=6 skipReadsIterA=1 readsPerIterA=4 */
/* dataAtIterB=1 numReadsIterB=6 skipReadsIterB=0 readsPerIterB=1 */


/* iter 6 */

/*  grEndMfmaIndex:5, lwStartMfmaIndex:23, lwEndMfmaIndex:28  */
/*  numMfmaForLR:1, barrierMfmaIndex:30 */
/*  mfmaIndex:12  */
_ds_load_u16_d16_hi v81, v[vgprLocalReadAddrA] offset:39680 // L -> Reg lro=3328 swapByteOffset=32768 ti=64 vIdx=0 rIdx=1 oIdx=0 buffer=7 iui=0
_ds_load_u16_d16_hi v82, v[vgprLocalReadAddrA] offset:39808 // L -> Reg lro=3328 swapByteOffset=32768 ti=64 vIdx=1 rIdx=1 oIdx=0 buffer=7 iui=0
/* localReadsVacancy: latencyLeft 9 */
s_waitcnt lgkmcnt(2)                               // lgkmcnt=0 vmcnt=-1wait for prior local read local write old=0, new=2 newLW=0 newLR=2
/* pack scheduling: packAIdx:1, packBIdx:0 */
v_or_b32 v[vgprValuA_X6_I0+0], v[vgprValuA_X6_I0+0], v79 // pack two half Vgpr to one Vgpr
v_or_b32 v[vgprValuA_X6_I0+1], v[vgprValuA_X6_I0+1], v80 // pack two half Vgpr to one Vgpr
s_nop  0                                           // VALU packing writes to be consumed by matrix instruction
v_mfma_f32_32x32x4bf16 a[0+0:15+0], v[vgprValuA_X6_I0+0+0+0], v[vgprValuB_X6_I0+0+0+0], a[0:15]
/*  mfmaIndex:13  */
/* localReadsVacancy: latencyLeft 13 */
v_mfma_f32_32x32x4bf16 a[16+0:31+0], v[vgprValuA_X6_I0+1+0+0], v[vgprValuB_X6_I0+0+0+0], a[16:31]
/* numPrefetchIter=0 */
/* dataAtIterA=5 numReadsIterA=7 skipReadsIterA=1 readsPerIterA=4 */
/* dataAtIterB=2 numReadsIterB=7 skipReadsIterB=0 readsPerIterB=1 */


/* iter 7 */

/*  grEndMfmaIndex:5, lwStartMfmaIndex:23, lwEndMfmaIndex:28  */
/*  numMfmaForLR:1, barrierMfmaIndex:30 */
/*  mfmaIndex:14  */
_ds_load_u16_d16_hi v79, v[vgprLocalReadAddrA] offset:41216 // L -> Reg lro=4096 swapByteOffset=32768 ti=64 vIdx=0 rIdx=1 oIdx=0 buffer=8 iui=0
_ds_load_u16_d16_hi v80, v[vgprLocalReadAddrA] offset:41344 // L -> Reg lro=4096 swapByteOffset=32768 ti=64 vIdx=1 rIdx=1 oIdx=0 buffer=8 iui=0
/* localReadsVacancy: latencyLeft 9 */
s_waitcnt lgkmcnt(2)                               // lgkmcnt=0 vmcnt=-1wait for prior local read local write old=0, new=2 newLW=0 newLR=2
/* pack scheduling: packAIdx:1, packBIdx:0 */
v_or_b32 v[vgprValuA_X7_I0+0], v[vgprValuA_X7_I0+0], v81 // pack two half Vgpr to one Vgpr
v_or_b32 v[vgprValuA_X7_I0+1], v[vgprValuA_X7_I0+1], v82 // pack two half Vgpr to one Vgpr
s_nop  0                                           // VALU packing writes to be consumed by matrix instruction
v_mfma_f32_32x32x4bf16 a[0+0:15+0], v[vgprValuA_X7_I0+0+0+0], v[vgprValuB_X6_I0+0+1+0], a[0:15]
/*  mfmaIndex:15  */
/* localReadsVacancy: latencyLeft 13 */
v_mfma_f32_32x32x4bf16 a[16+0:31+0], v[vgprValuA_X7_I0+1+0+0], v[vgprValuB_X6_I0+0+1+0], a[16:31]
/* numPrefetchIter=0 */
/* dataAtIterA=6 numReadsIterA=8 skipReadsIterA=1 readsPerIterA=4 */
/* dataAtIterB=2 numReadsIterB=7 skipReadsIterB=0 readsPerIterB=1 */


/* iter 8 */

/*  grEndMfmaIndex:5, lwStartMfmaIndex:23, lwEndMfmaIndex:28  */
/*  numMfmaForLR:1, barrierMfmaIndex:30 */
/*  mfmaIndex:16  */
_ds_load_u16_d16_hi v81, v[vgprLocalReadAddrA] offset:41728 // L -> Reg lro=4352 swapByteOffset=32768 ti=64 vIdx=0 rIdx=1 oIdx=0 buffer=9 iui=0
_ds_load_u16_d16_hi v82, v[vgprLocalReadAddrA] offset:41856 // L -> Reg lro=4352 swapByteOffset=32768 ti=64 vIdx=1 rIdx=1 oIdx=0 buffer=9 iui=0
/* localReadsVacancy: latencyLeft 9 */
s_waitcnt lgkmcnt(2)                               // lgkmcnt=0 vmcnt=-1wait for prior local read local write old=0, new=2 newLW=0 newLR=2
/* pack scheduling: packAIdx:1, packBIdx:0 */
v_or_b32 v[vgprValuA_X8_I0+0], v[vgprValuA_X8_I0+0], v79 // pack two half Vgpr to one Vgpr
v_or_b32 v[vgprValuA_X8_I0+1], v[vgprValuA_X8_I0+1], v80 // pack two half Vgpr to one Vgpr
s_nop  0                                           // VALU packing writes to be consumed by matrix instruction
v_mfma_f32_32x32x4bf16 a[0+0:15+0], v[vgprValuA_X8_I0+0+0+0], v[vgprValuB_X8_I0+0+0+0], a[0:15]
/*  mfmaIndex:17  */
/* localReadsVacancy: latencyLeft 13 */
v_mfma_f32_32x32x4bf16 a[16+0:31+0], v[vgprValuA_X8_I0+1+0+0], v[vgprValuB_X8_I0+0+0+0], a[16:31]
/* numPrefetchIter=0 */
/* dataAtIterA=7 numReadsIterA=9 skipReadsIterA=1 readsPerIterA=4 */
/* dataAtIterB=3 numReadsIterB=7 skipReadsIterB=0 readsPerIterB=1 */


/* iter 9 */

/*  grEndMfmaIndex:5, lwStartMfmaIndex:23, lwEndMfmaIndex:28  */
/*  numMfmaForLR:1, barrierMfmaIndex:30 */
/*  mfmaIndex:18  */
_ds_load_u16_d16_hi v79, v[vgprLocalReadAddrA] offset:43264 // L -> Reg lro=5120 swapByteOffset=32768 ti=64 vIdx=0 rIdx=1 oIdx=0 buffer=10 iui=0
_ds_load_u16_d16_hi v80, v[vgprLocalReadAddrA] offset:43392 // L -> Reg lro=5120 swapByteOffset=32768 ti=64 vIdx=1 rIdx=1 oIdx=0 buffer=10 iui=0
/* localReadsVacancy: latencyLeft 9 */
s_waitcnt lgkmcnt(2)                               // lgkmcnt=0 vmcnt=-1wait for prior local read local write old=0, new=2 newLW=0 newLR=2
/* pack scheduling: packAIdx:1, packBIdx:0 */
v_or_b32 v[vgprValuA_X9_I0+0], v[vgprValuA_X9_I0+0], v81 // pack two half Vgpr to one Vgpr
v_or_b32 v[vgprValuA_X9_I0+1], v[vgprValuA_X9_I0+1], v82 // pack two half Vgpr to one Vgpr
s_nop  0                                           // VALU packing writes to be consumed by matrix instruction
v_mfma_f32_32x32x4bf16 a[0+0:15+0], v[vgprValuA_X9_I0+0+0+0], v[vgprValuB_X8_I0+0+1+0], a[0:15]
/*  mfmaIndex:19  */
/* localReadsVacancy: latencyLeft 13 */
v_mfma_f32_32x32x4bf16 a[16+0:31+0], v[vgprValuA_X9_I0+1+0+0], v[vgprValuB_X8_I0+0+1+0], a[16:31]
/* numPrefetchIter=0 */
/* dataAtIterA=8 numReadsIterA=10 skipReadsIterA=1 readsPerIterA=4 */
/* dataAtIterB=3 numReadsIterB=7 skipReadsIterB=0 readsPerIterB=1 */


/* iter 10 */

/*  grEndMfmaIndex:5, lwStartMfmaIndex:23, lwEndMfmaIndex:28  */
/*  numMfmaForLR:1, barrierMfmaIndex:30 */
/*  mfmaIndex:20  */
_ds_load_u16_d16_hi v81, v[vgprLocalReadAddrA] offset:43776 // L -> Reg lro=5376 swapByteOffset=32768 ti=64 vIdx=0 rIdx=1 oIdx=0 buffer=11 iui=0
_ds_load_u16_d16_hi v82, v[vgprLocalReadAddrA] offset:43904 // L -> Reg lro=5376 swapByteOffset=32768 ti=64 vIdx=1 rIdx=1 oIdx=0 buffer=11 iui=0
/* localReadsVacancy: latencyLeft 9 */
s_waitcnt lgkmcnt(2)                               // lgkmcnt=0 vmcnt=-1wait for prior local read local write old=0, new=2 newLW=0 newLR=2
/* pack scheduling: packAIdx:1, packBIdx:0 */
v_or_b32 v[vgprValuA_X10_I0+0], v[vgprValuA_X10_I0+0], v79 // pack two half Vgpr to one Vgpr
v_or_b32 v[vgprValuA_X10_I0+1], v[vgprValuA_X10_I0+1], v80 // pack two half Vgpr to one Vgpr
s_nop  0                                           // VALU packing writes to be consumed by matrix instruction
v_mfma_f32_32x32x4bf16 a[0+0:15+0], v[vgprValuA_X10_I0+0+0+0], v[vgprValuB_X10_I0+0+0+0], a[0:15]
/*  mfmaIndex:21  */
/* localReadsVacancy: latencyLeft 13 */
v_mfma_f32_32x32x4bf16 a[16+0:31+0], v[vgprValuA_X10_I0+1+0+0], v[vgprValuB_X10_I0+0+0+0], a[16:31]
/* numPrefetchIter=0 */
/* dataAtIterA=9 numReadsIterA=11 skipReadsIterA=1 readsPerIterA=4 */
/* dataAtIterB=4 numReadsIterB=7 skipReadsIterB=0 readsPerIterB=1 */


/* iter 11 */

/*  grEndMfmaIndex:5, lwStartMfmaIndex:23, lwEndMfmaIndex:28  */
/*  numMfmaForLR:1, barrierMfmaIndex:30 */
/*  mfmaIndex:22  */
_ds_load_u16_d16_hi v79, v[vgprLocalReadAddrA] offset:45312 // L -> Reg lro=6144 swapByteOffset=32768 ti=64 vIdx=0 rIdx=1 oIdx=0 buffer=12 iui=0
_ds_load_u16_d16_hi v80, v[vgprLocalReadAddrA] offset:45440 // L -> Reg lro=6144 swapByteOffset=32768 ti=64 vIdx=1 rIdx=1 oIdx=0 buffer=12 iui=0
/* localReadsVacancy: latencyLeft 9 */
s_waitcnt lgkmcnt(2)                               // lgkmcnt=0 vmcnt=-1wait for prior local read local write old=0, new=2 newLW=0 newLR=2
/* pack scheduling: packAIdx:1, packBIdx:0 */
v_or_b32 v[vgprValuA_X11_I0+0], v[vgprValuA_X11_I0+0], v81 // pack two half Vgpr to one Vgpr
v_or_b32 v[vgprValuA_X11_I0+1], v[vgprValuA_X11_I0+1], v82 // pack two half Vgpr to one Vgpr
s_nop  0                                           // VALU packing writes to be consumed by matrix instruction
v_mfma_f32_32x32x4bf16 a[0+0:15+0], v[vgprValuA_X11_I0+0+0+0], v[vgprValuB_X10_I0+0+1+0], a[0:15]
/*  mfmaIndex:23  */
/* localReadsVacancy: latencyLeft 3 */
/* sched write - iter 11 writesPerItem=1 */
s_waitcnt vmcnt(0)                                 // lgkmcnt=-1 vmcnt=0wait for global read before writing to local
_ds_store_b128 v[vgprLocalWriteAddrA], v[vgprG2LA+0:vgprG2LA+0+3] offset:0 // lwoA_0_0_0_0 = (0*LSCA) + (0*LSPA)(*MT0I+PAD) = 0
v_mfma_f32_32x32x4bf16 a[16+0:31+0], v[vgprValuA_X11_I0+1+0+0], v[vgprValuB_X10_I0+0+1+0], a[16:31]
/* numPrefetchIter=0 */
/* dataAtIterA=10 numReadsIterA=12 skipReadsIterA=1 readsPerIterA=4 */
/* dataAtIterB=4 numReadsIterB=7 skipReadsIterB=0 readsPerIterB=1 */


/* iter 12 */

/*  grEndMfmaIndex:5, lwStartMfmaIndex:23, lwEndMfmaIndex:28  */
/*  numMfmaForLR:1, barrierMfmaIndex:30 */
/*  mfmaIndex:24  */
_ds_load_u16_d16_hi v81, v[vgprLocalReadAddrA] offset:45824 // L -> Reg lro=6400 swapByteOffset=32768 ti=64 vIdx=0 rIdx=1 oIdx=0 buffer=13 iui=0
/* sched write - iter 12 writesPerItem=1 */
s_waitcnt vmcnt(0)                                 // lgkmcnt=-1 vmcnt=0wait for global read before writing to local
_ds_store_b128 v[vgprLocalWriteAddrA], v[vgprG2LA+4:vgprG2LA+4+3] offset:1024 // lwoA_0_0_1_0 = (0*LSCA) + (1*LSPA)(*MT0I+PAD) = 1024
s_waitcnt lgkmcnt(3)                               // lgkmcnt=0 vmcnt=-1wait for prior local read local write old=0, new=3 newLW=2 newLR=1
/* pack scheduling: packAIdx:1, packBIdx:0 */
v_or_b32 v[vgprValuA_X12_I0+0], v[vgprValuA_X12_I0+0], v79 // pack two half Vgpr to one Vgpr
v_or_b32 v[vgprValuA_X12_I0+1], v[vgprValuA_X12_I0+1], v80 // pack two half Vgpr to one Vgpr
s_nop  0                                           // VALU packing writes to be consumed by matrix instruction
v_mfma_f32_32x32x4bf16 a[0+0:15+0], v[vgprValuA_X12_I0+0+0+0], v[vgprValuB_X12_I0+0+0+0], a[0:15]
/*  mfmaIndex:25  */
_ds_load_u16_d16_hi v82, v[vgprLocalReadAddrA] offset:45952 // L -> Reg lro=6400 swapByteOffset=32768 ti=64 vIdx=1 rIdx=1 oIdx=0 buffer=13 iui=0
/* localReadsVacancy: latencyLeft 1 */
/* sched write - iter 12 writesPerItem=1 */
s_waitcnt vmcnt(0)                                 // lgkmcnt=-1 vmcnt=0wait for global read before writing to local
_ds_store_b128 v[vgprLocalWriteAddrA], v[vgprG2LA+8:vgprG2LA+8+3] offset:2048 // lwoA_0_0_2_0 = (0*LSCA) + (2*LSPA)(*MT0I+PAD) = 2048
v_mfma_f32_32x32x4bf16 a[16+0:31+0], v[vgprValuA_X12_I0+1+0+0], v[vgprValuB_X12_I0+0+0+0], a[16:31]
/* numPrefetchIter=0 */
/* dataAtIterA=11 numReadsIterA=13 skipReadsIterA=1 readsPerIterA=4 */
/* dataAtIterB=5 numReadsIterB=7 skipReadsIterB=0 readsPerIterB=1 */


/* iter 13 */

/*  grEndMfmaIndex:5, lwStartMfmaIndex:23, lwEndMfmaIndex:28  */
/*  numMfmaForLR:1, barrierMfmaIndex:30 */
/*  mfmaIndex:26  */
_ds_load_u16_d16_hi v79, v[vgprLocalReadAddrA] offset:47360 // L -> Reg lro=7168 swapByteOffset=32768 ti=64 vIdx=0 rIdx=1 oIdx=0 buffer=14 iui=0
/* sched write - iter 13 writesPerItem=1 */
s_waitcnt vmcnt(0)                                 // lgkmcnt=-1 vmcnt=0wait for global read before writing to local
_ds_store_b128 v[vgprLocalWriteAddrA], v[vgprG2LA+12:vgprG2LA+12+3] offset:3072 // lwoA_0_0_3_0 = (0*LSCA) + (3*LSPA)(*MT0I+PAD) = 3072
s_waitcnt lgkmcnt(3)                               // lgkmcnt=0 vmcnt=-1wait for prior local read local write old=0, new=3 newLW=2 newLR=1
/* pack scheduling: packAIdx:1, packBIdx:0 */
v_or_b32 v[vgprValuA_X13_I0+0], v[vgprValuA_X13_I0+0], v81 // pack two half Vgpr to one Vgpr
v_or_b32 v[vgprValuA_X13_I0+1], v[vgprValuA_X13_I0+1], v82 // pack two half Vgpr to one Vgpr
s_nop  0                                           // VALU packing writes to be consumed by matrix instruction
v_mfma_f32_32x32x4bf16 a[0+0:15+0], v[vgprValuA_X13_I0+0+0+0], v[vgprValuB_X12_I0+0+1+0], a[0:15]
/*  mfmaIndex:27  */
_ds_load_u16_d16_hi v80, v[vgprLocalReadAddrA] offset:47488 // L -> Reg lro=7168 swapByteOffset=32768 ti=64 vIdx=1 rIdx=1 oIdx=0 buffer=14 iui=0
/* localReadsVacancy: latencyLeft 1 */
/* sched write - iter 13 writesPerItem=1 */
s_waitcnt vmcnt(0)                                 // lgkmcnt=-1 vmcnt=0wait for global read before writing to local
_ds_store_b128 v[vgprLocalWriteAddrB], v[vgprG2LB+0:vgprG2LB+0+3] offset:0 // lwoB_0_0_0_0 = (0*LSCB)*(MT1J+PAD) + (0*LSPB) = 0
v_mfma_f32_32x32x4bf16 a[16+0:31+0], v[vgprValuA_X13_I0+1+0+0], v[vgprValuB_X12_I0+0+1+0], a[16:31]
/* numPrefetchIter=0 */
/* dataAtIterA=12 numReadsIterA=14 skipReadsIterA=1 readsPerIterA=4 */
/* dataAtIterB=5 numReadsIterB=7 skipReadsIterB=0 readsPerIterB=1 */


/* iter 14 (reset local read pointers iteration)  (swap and reset local write pointers iteration)  (swap local read pointers iteration)  */

/*  grEndMfmaIndex:5, lwStartMfmaIndex:23, lwEndMfmaIndex:28  */
/*  numMfmaForLR:1, barrierMfmaIndex:30 */
/*  mfmaIndex:28  */
_ds_load_u16_d16_hi v81, v[vgprLocalReadAddrA] offset:47872 // L -> Reg lro=7424 swapByteOffset=32768 ti=64 vIdx=0 rIdx=1 oIdx=0 buffer=15 iui=0
/* sched write - iter 14 writesPerItem=1 */
s_waitcnt vmcnt(0)                                 // lgkmcnt=-1 vmcnt=0wait for global read before writing to local
_ds_store_b128 v[vgprLocalWriteAddrB], v[vgprG2LB+4:vgprG2LB+4+3] offset:1152 // lwoB_0_0_1_0 = (0*LSCB)*(MT1J+PAD) + (1*LSPB) = 1152

/* local write swap offsets a */

/* (EPS=1) local write swap internal offset -> 32768 */

/* local write swap offsets b */

/* (EPS=1) local write swap internal offset -> 32768 */
s_waitcnt lgkmcnt(3)                               // lgkmcnt=0 vmcnt=-1wait for prior local read local write old=0, new=3 newLW=2 newLR=1
/* pack scheduling: packAIdx:1, packBIdx:0 */
v_or_b32 v[vgprValuA_X14_I0+0], v[vgprValuA_X14_I0+0], v79 // pack two half Vgpr to one Vgpr
v_or_b32 v[vgprValuA_X14_I0+1], v[vgprValuA_X14_I0+1], v80 // pack two half Vgpr to one Vgpr
s_nop  0                                           // VALU packing writes to be consumed by matrix instruction
v_mfma_f32_32x32x4bf16 a[0+0:15+0], v[vgprValuA_X14_I0+0+0+0], v[vgprValuB_X14_I0+0+0+0], a[0:15]
/*  mfmaIndex:29  */
_ds_load_u16_d16_hi v82, v[vgprLocalReadAddrA] offset:48000 // L -> Reg lro=7424 swapByteOffset=32768 ti=64 vIdx=1 rIdx=1 oIdx=0 buffer=15 iui=0
/* localReadsVacancy: latencyLeft 11 */

/* local read swap offsets a */

/* local read swap internal offset -> 0 */

/* local read swap offsets b */

/* local read swap internal offset -> 0 */

/* local read init pointers a */

/* localReadInitPointers */

/* local read init pointers b */

/* localReadInitPointers */
v_mfma_f32_32x32x4bf16 a[16+0:31+0], v[vgprValuA_X14_I0+1+0+0], v[vgprValuB_X14_I0+0+0+0], a[16:31]
/* numPrefetchIter=0 */
/* dataAtIterA=13 numReadsIterA=15 skipReadsIterA=1 readsPerIterA=4 */
/* dataAtIterB=6 numReadsIterB=7 skipReadsIterB=0 readsPerIterB=1 */


/* iter 15 */

/*  grEndMfmaIndex:5, lwStartMfmaIndex:23, lwEndMfmaIndex:28  */
/*  numMfmaForLR:1, barrierMfmaIndex:30 */
/*  mfmaIndex:30  */
s_waitcnt lgkmcnt(0)                               // lgkmcnt=0 vmcnt=-13wait for local write
s_waitcnt lgkmcnt(0) & vmcnt(0)                    // force waitcnt0
s_barrier //
s_waitcnt lgkmcnt(0)                               // lgkmcnt=0 vmcnt=-1wait for prior local read local write old=0, new=0 newLW=0 newLR=0
/* pack scheduling: packAIdx:1, packBIdx:0 */
v_or_b32 v[vgprValuA_X15_I0+0], v[vgprValuA_X15_I0+0], v81 // pack two half Vgpr to one Vgpr
v_or_b32 v[vgprValuA_X15_I0+1], v[vgprValuA_X15_I0+1], v82 // pack two half Vgpr to one Vgpr
s_nop  0                                           // VALU packing writes to be consumed by matrix instruction
v_mfma_f32_32x32x4bf16 a[0+0:15+0], v[vgprValuA_X15_I0+0+0+0], v[vgprValuB_X14_I0+0+1+0], a[0:15]
/*  mfmaIndex:31  */
_ds_load_u16 v[vgprValuA_X0_I0+0], v[vgprLocalReadAddrA] offset:0 // L -> Reg lro=0 swapByteOffset=0 ti=64 vIdx=0 rIdx=0 oIdx=0 buffer=0 iui=0
_ds_load_u16_d16_hi v79, v[vgprLocalReadAddrA] offset:256 // L -> Reg lro=0 swapByteOffset=0 ti=64 vIdx=0 rIdx=1 oIdx=0 buffer=0 iui=0
_ds_load_b64 v[vgprValuB_X0_I0+0:vgprValuB_X0_I0+0+1], v[vgprLocalReadAddrB] offset:0 // L -> Reg lro=0 swapByteOffset=0 ti=64 vIdx=0 rIdx=0 oIdx=0 buffer=0 iui=0
_ds_load_u16 v[vgprValuA_X0_I0+1], v[vgprLocalReadAddrA] offset:128 // L -> Reg lro=0 swapByteOffset=0 ti=64 vIdx=1 rIdx=0 oIdx=0 buffer=0 iui=0
_ds_load_u16_d16_hi v80, v[vgprLocalReadAddrA] offset:384 // L -> Reg lro=0 swapByteOffset=0 ti=64 vIdx=1 rIdx=1 oIdx=0 buffer=0 iui=0
v_mfma_f32_32x32x4bf16 a[16+0:31+0], v[vgprValuA_X15_I0+1+0+0], v[vgprValuB_X14_I0+0+1+0], a[16:31]
/* numPrefetchIter=1 */
/* dataAtIterA=14 numReadsIterA=15 skipReadsIterA=1 readsPerIterA=4 */
/* dataAtIterB=6 numReadsIterB=7 skipReadsIterB=1 readsPerIterB=1 */


/******************************************/
/* Unrolled Loop - End 2/2 (final)        */
/******************************************/


/* closeLoop loopL finalLoop=1 tailLoop=0 */
s_sub_u32 s[sgprLoopCounterL], s[sgprLoopCounterL], 1 // dec counterL
s_cmp_eq_i32 s[sgprLoopCounterL], 0x1              // counterL==1
s_cbranch_scc0 LoopBeginL_1                        // restart LoopL
LoopEndL_evenexit_4: // unroll loop eveniter exit
s_branch LoopEndL_2                                // exit unroll loopL (and skip second exit code)
LoopEndL_oddexit_3: // unroll loop odditer exit

/* Select high bank of LDS */
v_xor_b32 v[vgprLocalReadAddrA], 0x8000, v[vgprLocalReadAddrA] // swap Red Blk
v_xor_b32 v[vgprLocalReadAddrB], 0x8000, v[vgprLocalReadAddrB] // swap Red Blk
LoopEndL_2:


/* Before NLL: Check VGPR.checkin for INT8 LW */


/******************************************/
/* Ord. NoLoadLoop - Begin                                      */
/******************************************/


	;; [unrolled: 1-line block ×4, first 2 shown]
/* iter 0 (last unrolled loop) */

/*  grEndMfmaIndex:0, lwStartMfmaIndex:28, lwEndMfmaIndex:28  */
/*  numMfmaForLR:1, barrierMfmaIndex:30 */
/*  mfmaIndex:0  */
s_waitcnt lgkmcnt(0)                               // lgkmcnt=0 vmcnt=-1wait for prior local read local write old=0, new=0 newLW=0 newLR=0
/* pack scheduling: packAIdx:1, packBIdx:0 */
v_or_b32 v[vgprValuA_X0_I0+0], v[vgprValuA_X0_I0+0], v79 // pack two half Vgpr to one Vgpr
v_or_b32 v[vgprValuA_X0_I0+1], v[vgprValuA_X0_I0+1], v80 // pack two half Vgpr to one Vgpr
s_nop  0                                           // VALU packing writes to be consumed by matrix instruction
v_mfma_f32_32x32x4bf16 a[0+0:15+0], v[vgprValuA_X0_I0+0+0+0], v[vgprValuB_X0_I0+0+0+0], a[0:15]
/*  mfmaIndex:1  */
_ds_load_u16 v[vgprValuA_X1_I0+0], v[vgprLocalReadAddrA] offset:512 // L -> Reg lro=256 swapByteOffset=0 ti=64 vIdx=0 rIdx=0 oIdx=0 buffer=1 iui=0
_ds_load_u16_d16_hi v81, v[vgprLocalReadAddrA] offset:768 // L -> Reg lro=256 swapByteOffset=0 ti=64 vIdx=0 rIdx=1 oIdx=0 buffer=1 iui=0
_ds_load_b64 v[vgprValuB_X2_I0+0:vgprValuB_X2_I0+0+1], v[vgprLocalReadAddrB] offset:16 // L -> Reg lro=8 swapByteOffset=0 ti=64 vIdx=0 rIdx=0 oIdx=0 buffer=2 iui=0
_ds_load_u16 v[vgprValuA_X1_I0+1], v[vgprLocalReadAddrA] offset:640 // L -> Reg lro=256 swapByteOffset=0 ti=64 vIdx=1 rIdx=0 oIdx=0 buffer=1 iui=0
_ds_load_u16_d16_hi v82, v[vgprLocalReadAddrA] offset:896 // L -> Reg lro=256 swapByteOffset=0 ti=64 vIdx=1 rIdx=1 oIdx=0 buffer=1 iui=0
/* localReadsVacancy: latencyLeft 3 */
_ds_load_u16 v[vgprValuA_X2_I0+0], v[vgprLocalReadAddrA] offset:2048 // L -> Reg lro=1024 swapByteOffset=0 ti=64 vIdx=0 rIdx=0 oIdx=0 buffer=2 iui=0
v_mfma_f32_32x32x4bf16 a[16+0:31+0], v[vgprValuA_X0_I0+1+0+0], v[vgprValuB_X0_I0+0+0+0], a[16:31]
/* numPrefetchIter=0 */
/* dataAtIterA=-1 numReadsIterA=1 skipReadsIterA=1 readsPerIterA=4 */
/* dataAtIterB=-1 numReadsIterB=1 skipReadsIterB=1 readsPerIterB=1 */


/* iter 1 (last unrolled loop) */

/*  grEndMfmaIndex:0, lwStartMfmaIndex:28, lwEndMfmaIndex:28  */
/*  numMfmaForLR:1, barrierMfmaIndex:30 */
/*  mfmaIndex:2  */
_ds_load_u16_d16_hi v79, v[vgprLocalReadAddrA] offset:2304 // L -> Reg lro=1024 swapByteOffset=0 ti=64 vIdx=0 rIdx=1 oIdx=0 buffer=2 iui=0
_ds_load_b64 v[vgprValuB_X4_I0+0:vgprValuB_X4_I0+0+1], v[vgprLocalReadAddrB] offset:32 // L -> Reg lro=16 swapByteOffset=0 ti=64 vIdx=0 rIdx=0 oIdx=0 buffer=4 iui=0
_ds_load_u16 v[vgprValuA_X2_I0+1], v[vgprLocalReadAddrA] offset:2176 // L -> Reg lro=1024 swapByteOffset=0 ti=64 vIdx=1 rIdx=0 oIdx=0 buffer=2 iui=0
_ds_load_u16_d16_hi v80, v[vgprLocalReadAddrA] offset:2432 // L -> Reg lro=1024 swapByteOffset=0 ti=64 vIdx=1 rIdx=1 oIdx=0 buffer=2 iui=0
/* localReadsVacancy: latencyLeft 5 */
_ds_load_u16 v[vgprValuA_X3_I0+0], v[vgprLocalReadAddrA] offset:2560 // L -> Reg lro=1280 swapByteOffset=0 ti=64 vIdx=0 rIdx=0 oIdx=0 buffer=3 iui=0
_ds_load_b64 v[vgprValuB_X6_I0+0:vgprValuB_X6_I0+0+1], v[vgprLocalReadAddrB] offset:48 // L -> Reg lro=24 swapByteOffset=0 ti=64 vIdx=0 rIdx=0 oIdx=0 buffer=6 iui=0
s_waitcnt lgkmcnt(7)                               // lgkmcnt=0 vmcnt=-1wait for prior local read local write old=1, new=5 newLW=0 newLR=4
/* pack scheduling: packAIdx:1, packBIdx:0 */
v_or_b32 v[vgprValuA_X1_I0+0], v[vgprValuA_X1_I0+0], v81 // pack two half Vgpr to one Vgpr
v_or_b32 v[vgprValuA_X1_I0+1], v[vgprValuA_X1_I0+1], v82 // pack two half Vgpr to one Vgpr
s_nop  0                                           // VALU packing writes to be consumed by matrix instruction
v_mfma_f32_32x32x4bf16 a[0+0:15+0], v[vgprValuA_X1_I0+0+0+0], v[vgprValuB_X0_I0+0+1+0], a[0:15]
/*  mfmaIndex:3  */
/* localReadsVacancy: latencyLeft 13 */
_ds_load_u16 v[vgprValuA_X3_I0+1], v[vgprLocalReadAddrA] offset:2688 // L -> Reg lro=1280 swapByteOffset=0 ti=64 vIdx=1 rIdx=0 oIdx=0 buffer=3 iui=0
_ds_load_u16 v[vgprValuA_X4_I0+0], v[vgprLocalReadAddrA] offset:4096 // L -> Reg lro=2048 swapByteOffset=0 ti=64 vIdx=0 rIdx=0 oIdx=0 buffer=4 iui=0
_ds_load_b64 v[vgprValuB_X8_I0+0:vgprValuB_X8_I0+0+1], v[vgprLocalReadAddrB] offset:64 // L -> Reg lro=32 swapByteOffset=0 ti=64 vIdx=0 rIdx=0 oIdx=0 buffer=8 iui=0
_ds_load_u16 v[vgprValuA_X4_I0+1], v[vgprLocalReadAddrA] offset:4224 // L -> Reg lro=2048 swapByteOffset=0 ti=64 vIdx=1 rIdx=0 oIdx=0 buffer=4 iui=0
_ds_load_u16 v[vgprValuA_X5_I0+0], v[vgprLocalReadAddrA] offset:4608 // L -> Reg lro=2304 swapByteOffset=0 ti=64 vIdx=0 rIdx=0 oIdx=0 buffer=5 iui=0
_ds_load_b64 v[vgprValuB_X10_I0+0:vgprValuB_X10_I0+0+1], v[vgprLocalReadAddrB] offset:80 // L -> Reg lro=40 swapByteOffset=0 ti=64 vIdx=0 rIdx=0 oIdx=0 buffer=10 iui=0
v_mfma_f32_32x32x4bf16 a[16+0:31+0], v[vgprValuA_X1_I0+1+0+0], v[vgprValuB_X0_I0+0+1+0], a[16:31]
/* numPrefetchIter=0 */
/* dataAtIterA=0 numReadsIterA=2 skipReadsIterA=1 readsPerIterA=4 */
/* dataAtIterB=-1 numReadsIterB=2 skipReadsIterB=0 readsPerIterB=1 */


/* iter 2 (last unrolled loop) */

/*  grEndMfmaIndex:0, lwStartMfmaIndex:28, lwEndMfmaIndex:28  */
/*  numMfmaForLR:1, barrierMfmaIndex:30 */
/*  mfmaIndex:4  */
_ds_load_u16_d16_hi v81, v[vgprLocalReadAddrA] offset:2816 // L -> Reg lro=1280 swapByteOffset=0 ti=64 vIdx=0 rIdx=1 oIdx=0 buffer=3 iui=0
_ds_load_u16_d16_hi v82, v[vgprLocalReadAddrA] offset:2944 // L -> Reg lro=1280 swapByteOffset=0 ti=64 vIdx=1 rIdx=1 oIdx=0 buffer=3 iui=0
/* localReadsVacancy: latencyLeft 9 */
_ds_load_u16 v[vgprValuA_X5_I0+1], v[vgprLocalReadAddrA] offset:4736 // L -> Reg lro=2304 swapByteOffset=0 ti=64 vIdx=1 rIdx=0 oIdx=0 buffer=5 iui=0
_ds_load_u16 v[vgprValuA_X6_I0+0], v[vgprLocalReadAddrA] offset:6144 // L -> Reg lro=3072 swapByteOffset=0 ti=64 vIdx=0 rIdx=0 oIdx=0 buffer=6 iui=0
_ds_load_b64 v[vgprValuB_X12_I0+0:vgprValuB_X12_I0+0+1], v[vgprLocalReadAddrB] offset:96 // L -> Reg lro=48 swapByteOffset=0 ti=64 vIdx=0 rIdx=0 oIdx=0 buffer=12 iui=0
_ds_load_u16 v[vgprValuA_X6_I0+1], v[vgprLocalReadAddrA] offset:6272 // L -> Reg lro=3072 swapByteOffset=0 ti=64 vIdx=1 rIdx=0 oIdx=0 buffer=6 iui=0
s_waitcnt lgkmcnt(14)                              // lgkmcnt=0 vmcnt=-1wait for prior local read local write old=3, new=5 newLW=0 newLR=2
/* pack scheduling: packAIdx:1, packBIdx:0 */
v_or_b32 v[vgprValuA_X2_I0+0], v[vgprValuA_X2_I0+0], v79 // pack two half Vgpr to one Vgpr
v_or_b32 v[vgprValuA_X2_I0+1], v[vgprValuA_X2_I0+1], v80 // pack two half Vgpr to one Vgpr
s_nop  0                                           // VALU packing writes to be consumed by matrix instruction
v_mfma_f32_32x32x4bf16 a[0+0:15+0], v[vgprValuA_X2_I0+0+0+0], v[vgprValuB_X2_I0+0+0+0], a[0:15]
/*  mfmaIndex:5  */
/* localReadsVacancy: latencyLeft 13 */
_ds_load_u16 v[vgprValuA_X7_I0+0], v[vgprLocalReadAddrA] offset:6656 // L -> Reg lro=3328 swapByteOffset=0 ti=64 vIdx=0 rIdx=0 oIdx=0 buffer=7 iui=0
_ds_load_b64 v[vgprValuB_X14_I0+0:vgprValuB_X14_I0+0+1], v[vgprLocalReadAddrB] offset:112 // L -> Reg lro=56 swapByteOffset=0 ti=64 vIdx=0 rIdx=0 oIdx=0 buffer=14 iui=0
_ds_load_u16 v[vgprValuA_X7_I0+1], v[vgprLocalReadAddrA] offset:6784 // L -> Reg lro=3328 swapByteOffset=0 ti=64 vIdx=1 rIdx=0 oIdx=0 buffer=7 iui=0
_ds_load_u16 v[vgprValuA_X8_I0+0], v[vgprLocalReadAddrA] offset:8192 // L -> Reg lro=4096 swapByteOffset=0 ti=64 vIdx=0 rIdx=0 oIdx=0 buffer=8 iui=0
_ds_load_u16 v[vgprValuA_X8_I0+1], v[vgprLocalReadAddrA] offset:8320 // L -> Reg lro=4096 swapByteOffset=0 ti=64 vIdx=1 rIdx=0 oIdx=0 buffer=8 iui=0
_ds_load_u16 v[vgprValuA_X9_I0+0], v[vgprLocalReadAddrA] offset:8704 // L -> Reg lro=4352 swapByteOffset=0 ti=64 vIdx=0 rIdx=0 oIdx=0 buffer=9 iui=0
v_mfma_f32_32x32x4bf16 a[16+0:31+0], v[vgprValuA_X2_I0+1+0+0], v[vgprValuB_X2_I0+0+0+0], a[16:31]
/* numPrefetchIter=0 */
/* dataAtIterA=1 numReadsIterA=3 skipReadsIterA=1 readsPerIterA=4 */
/* dataAtIterB=0 numReadsIterB=3 skipReadsIterB=0 readsPerIterB=1 */


/* iter 3 (last unrolled loop) */

/*  grEndMfmaIndex:0, lwStartMfmaIndex:28, lwEndMfmaIndex:28  */
/*  numMfmaForLR:1, barrierMfmaIndex:30 */
/*  mfmaIndex:6  */
_ds_load_u16_d16_hi v79, v[vgprLocalReadAddrA] offset:4352 // L -> Reg lro=2048 swapByteOffset=0 ti=64 vIdx=0 rIdx=1 oIdx=0 buffer=4 iui=0
_ds_load_u16_d16_hi v80, v[vgprLocalReadAddrA] offset:4480 // L -> Reg lro=2048 swapByteOffset=0 ti=64 vIdx=1 rIdx=1 oIdx=0 buffer=4 iui=0
/* localReadsVacancy: latencyLeft 9 */
_ds_load_u16 v[vgprValuA_X9_I0+1], v[vgprLocalReadAddrA] offset:8832 // L -> Reg lro=4352 swapByteOffset=0 ti=64 vIdx=1 rIdx=0 oIdx=0 buffer=9 iui=0
_ds_load_u16 v[vgprValuA_X10_I0+0], v[vgprLocalReadAddrA] offset:10240 // L -> Reg lro=5120 swapByteOffset=0 ti=64 vIdx=0 rIdx=0 oIdx=0 buffer=10 iui=0
_ds_load_u16 v[vgprValuA_X10_I0+1], v[vgprLocalReadAddrA] offset:10368 // L -> Reg lro=5120 swapByteOffset=0 ti=64 vIdx=1 rIdx=0 oIdx=0 buffer=10 iui=0
_ds_load_u16 v[vgprValuA_X11_I0+0], v[vgprLocalReadAddrA] offset:10752 // L -> Reg lro=5376 swapByteOffset=0 ti=64 vIdx=0 rIdx=0 oIdx=0 buffer=11 iui=0
s_waitcnt lgkmcnt(15)                              // lgkmcnt=0 vmcnt=-1wait for prior local read local write old=0, new=2 newLW=0 newLR=2
/* pack scheduling: packAIdx:1, packBIdx:0 */
v_or_b32 v[vgprValuA_X3_I0+0], v[vgprValuA_X3_I0+0], v81 // pack two half Vgpr to one Vgpr
v_or_b32 v[vgprValuA_X3_I0+1], v[vgprValuA_X3_I0+1], v82 // pack two half Vgpr to one Vgpr
s_nop  0                                           // VALU packing writes to be consumed by matrix instruction
v_mfma_f32_32x32x4bf16 a[0+0:15+0], v[vgprValuA_X3_I0+0+0+0], v[vgprValuB_X2_I0+0+1+0], a[0:15]
/*  mfmaIndex:7  */
/* localReadsVacancy: latencyLeft 13 */
_ds_load_u16 v[vgprValuA_X11_I0+1], v[vgprLocalReadAddrA] offset:10880 // L -> Reg lro=5376 swapByteOffset=0 ti=64 vIdx=1 rIdx=0 oIdx=0 buffer=11 iui=0
_ds_load_u16 v[vgprValuA_X12_I0+0], v[vgprLocalReadAddrA] offset:12288 // L -> Reg lro=6144 swapByteOffset=0 ti=64 vIdx=0 rIdx=0 oIdx=0 buffer=12 iui=0
_ds_load_u16 v[vgprValuA_X12_I0+1], v[vgprLocalReadAddrA] offset:12416 // L -> Reg lro=6144 swapByteOffset=0 ti=64 vIdx=1 rIdx=0 oIdx=0 buffer=12 iui=0
_ds_load_u16 v[vgprValuA_X13_I0+0], v[vgprLocalReadAddrA] offset:12800 // L -> Reg lro=6400 swapByteOffset=0 ti=64 vIdx=0 rIdx=0 oIdx=0 buffer=13 iui=0
_ds_load_u16 v[vgprValuA_X13_I0+1], v[vgprLocalReadAddrA] offset:12928 // L -> Reg lro=6400 swapByteOffset=0 ti=64 vIdx=1 rIdx=0 oIdx=0 buffer=13 iui=0
_ds_load_u16 v[vgprValuA_X14_I0+0], v[vgprLocalReadAddrA] offset:14336 // L -> Reg lro=7168 swapByteOffset=0 ti=64 vIdx=0 rIdx=0 oIdx=0 buffer=14 iui=0
v_mfma_f32_32x32x4bf16 a[16+0:31+0], v[vgprValuA_X3_I0+1+0+0], v[vgprValuB_X2_I0+0+1+0], a[16:31]
/* numPrefetchIter=0 */
/* dataAtIterA=2 numReadsIterA=4 skipReadsIterA=1 readsPerIterA=4 */
/* dataAtIterB=0 numReadsIterB=4 skipReadsIterB=0 readsPerIterB=1 */


/* iter 4 (last unrolled loop) */

/*  grEndMfmaIndex:0, lwStartMfmaIndex:28, lwEndMfmaIndex:28  */
/*  numMfmaForLR:1, barrierMfmaIndex:30 */
/*  mfmaIndex:8  */
_ds_load_u16_d16_hi v81, v[vgprLocalReadAddrA] offset:4864 // L -> Reg lro=2304 swapByteOffset=0 ti=64 vIdx=0 rIdx=1 oIdx=0 buffer=5 iui=0
_ds_load_u16_d16_hi v82, v[vgprLocalReadAddrA] offset:4992 // L -> Reg lro=2304 swapByteOffset=0 ti=64 vIdx=1 rIdx=1 oIdx=0 buffer=5 iui=0
/* localReadsVacancy: latencyLeft 9 */
_ds_load_u16 v[vgprValuA_X14_I0+1], v[vgprLocalReadAddrA] offset:14464 // L -> Reg lro=7168 swapByteOffset=0 ti=64 vIdx=1 rIdx=0 oIdx=0 buffer=14 iui=0
_ds_load_u16 v[vgprValuA_X15_I0+0], v[vgprLocalReadAddrA] offset:14848 // L -> Reg lro=7424 swapByteOffset=0 ti=64 vIdx=0 rIdx=0 oIdx=0 buffer=15 iui=0
_ds_load_u16 v[vgprValuA_X15_I0+1], v[vgprLocalReadAddrA] offset:14976 // L -> Reg lro=7424 swapByteOffset=0 ti=64 vIdx=1 rIdx=0 oIdx=0 buffer=15 iui=0
s_waitcnt lgkmcnt(15)                              // lgkmcnt=0 vmcnt=-1wait for prior local read local write old=0, new=2 newLW=0 newLR=2
/* pack scheduling: packAIdx:1, packBIdx:0 */
v_or_b32 v[vgprValuA_X4_I0+0], v[vgprValuA_X4_I0+0], v79 // pack two half Vgpr to one Vgpr
v_or_b32 v[vgprValuA_X4_I0+1], v[vgprValuA_X4_I0+1], v80 // pack two half Vgpr to one Vgpr
s_nop  0                                           // VALU packing writes to be consumed by matrix instruction
v_mfma_f32_32x32x4bf16 a[0+0:15+0], v[vgprValuA_X4_I0+0+0+0], v[vgprValuB_X4_I0+0+0+0], a[0:15]
/*  mfmaIndex:9  */
/* localReadsVacancy: latencyLeft 13 */
v_mfma_f32_32x32x4bf16 a[16+0:31+0], v[vgprValuA_X4_I0+1+0+0], v[vgprValuB_X4_I0+0+0+0], a[16:31]
/* numPrefetchIter=0 */
/* dataAtIterA=3 numReadsIterA=5 skipReadsIterA=1 readsPerIterA=4 */
/* dataAtIterB=1 numReadsIterB=5 skipReadsIterB=0 readsPerIterB=1 */


/* iter 5 (last unrolled loop) */

/*  grEndMfmaIndex:0, lwStartMfmaIndex:28, lwEndMfmaIndex:28  */
/*  numMfmaForLR:1, barrierMfmaIndex:30 */
/*  mfmaIndex:10  */
_ds_load_u16_d16_hi v79, v[vgprLocalReadAddrA] offset:6400 // L -> Reg lro=3072 swapByteOffset=0 ti=64 vIdx=0 rIdx=1 oIdx=0 buffer=6 iui=0
_ds_load_u16_d16_hi v80, v[vgprLocalReadAddrA] offset:6528 // L -> Reg lro=3072 swapByteOffset=0 ti=64 vIdx=1 rIdx=1 oIdx=0 buffer=6 iui=0
/* localReadsVacancy: latencyLeft 9 */
s_waitcnt lgkmcnt(5)                               // lgkmcnt=0 vmcnt=-1wait for prior local read local write old=0, new=2 newLW=0 newLR=2
/* pack scheduling: packAIdx:1, packBIdx:0 */
v_or_b32 v[vgprValuA_X5_I0+0], v[vgprValuA_X5_I0+0], v81 // pack two half Vgpr to one Vgpr
v_or_b32 v[vgprValuA_X5_I0+1], v[vgprValuA_X5_I0+1], v82 // pack two half Vgpr to one Vgpr
s_nop  0                                           // VALU packing writes to be consumed by matrix instruction
v_mfma_f32_32x32x4bf16 a[0+0:15+0], v[vgprValuA_X5_I0+0+0+0], v[vgprValuB_X4_I0+0+1+0], a[0:15]
/*  mfmaIndex:11  */
/* localReadsVacancy: latencyLeft 13 */
v_mfma_f32_32x32x4bf16 a[16+0:31+0], v[vgprValuA_X5_I0+1+0+0], v[vgprValuB_X4_I0+0+1+0], a[16:31]
/* numPrefetchIter=0 */
/* dataAtIterA=4 numReadsIterA=6 skipReadsIterA=1 readsPerIterA=4 */
/* dataAtIterB=1 numReadsIterB=6 skipReadsIterB=0 readsPerIterB=1 */


/* iter 6 (last unrolled loop) */

/*  grEndMfmaIndex:0, lwStartMfmaIndex:28, lwEndMfmaIndex:28  */
/*  numMfmaForLR:1, barrierMfmaIndex:30 */
/*  mfmaIndex:12  */
_ds_load_u16_d16_hi v81, v[vgprLocalReadAddrA] offset:6912 // L -> Reg lro=3328 swapByteOffset=0 ti=64 vIdx=0 rIdx=1 oIdx=0 buffer=7 iui=0
_ds_load_u16_d16_hi v82, v[vgprLocalReadAddrA] offset:7040 // L -> Reg lro=3328 swapByteOffset=0 ti=64 vIdx=1 rIdx=1 oIdx=0 buffer=7 iui=0
/* localReadsVacancy: latencyLeft 9 */
s_waitcnt lgkmcnt(2)                               // lgkmcnt=0 vmcnt=-1wait for prior local read local write old=0, new=2 newLW=0 newLR=2
/* pack scheduling: packAIdx:1, packBIdx:0 */
v_or_b32 v[vgprValuA_X6_I0+0], v[vgprValuA_X6_I0+0], v79 // pack two half Vgpr to one Vgpr
v_or_b32 v[vgprValuA_X6_I0+1], v[vgprValuA_X6_I0+1], v80 // pack two half Vgpr to one Vgpr
s_nop  0                                           // VALU packing writes to be consumed by matrix instruction
v_mfma_f32_32x32x4bf16 a[0+0:15+0], v[vgprValuA_X6_I0+0+0+0], v[vgprValuB_X6_I0+0+0+0], a[0:15]
/*  mfmaIndex:13  */
/* localReadsVacancy: latencyLeft 13 */
v_mfma_f32_32x32x4bf16 a[16+0:31+0], v[vgprValuA_X6_I0+1+0+0], v[vgprValuB_X6_I0+0+0+0], a[16:31]
/* numPrefetchIter=0 */
/* dataAtIterA=5 numReadsIterA=7 skipReadsIterA=1 readsPerIterA=4 */
/* dataAtIterB=2 numReadsIterB=7 skipReadsIterB=0 readsPerIterB=1 */


/* iter 7 (last unrolled loop) */

/*  grEndMfmaIndex:0, lwStartMfmaIndex:28, lwEndMfmaIndex:28  */
/*  numMfmaForLR:1, barrierMfmaIndex:30 */
/*  mfmaIndex:14  */
_ds_load_u16_d16_hi v79, v[vgprLocalReadAddrA] offset:8448 // L -> Reg lro=4096 swapByteOffset=0 ti=64 vIdx=0 rIdx=1 oIdx=0 buffer=8 iui=0
_ds_load_u16_d16_hi v80, v[vgprLocalReadAddrA] offset:8576 // L -> Reg lro=4096 swapByteOffset=0 ti=64 vIdx=1 rIdx=1 oIdx=0 buffer=8 iui=0
/* localReadsVacancy: latencyLeft 9 */
s_waitcnt lgkmcnt(2)                               // lgkmcnt=0 vmcnt=-1wait for prior local read local write old=0, new=2 newLW=0 newLR=2
/* pack scheduling: packAIdx:1, packBIdx:0 */
v_or_b32 v[vgprValuA_X7_I0+0], v[vgprValuA_X7_I0+0], v81 // pack two half Vgpr to one Vgpr
v_or_b32 v[vgprValuA_X7_I0+1], v[vgprValuA_X7_I0+1], v82 // pack two half Vgpr to one Vgpr
s_nop  0                                           // VALU packing writes to be consumed by matrix instruction
v_mfma_f32_32x32x4bf16 a[0+0:15+0], v[vgprValuA_X7_I0+0+0+0], v[vgprValuB_X6_I0+0+1+0], a[0:15]
/*  mfmaIndex:15  */
/* localReadsVacancy: latencyLeft 13 */
v_mfma_f32_32x32x4bf16 a[16+0:31+0], v[vgprValuA_X7_I0+1+0+0], v[vgprValuB_X6_I0+0+1+0], a[16:31]
/* numPrefetchIter=0 */
/* dataAtIterA=6 numReadsIterA=8 skipReadsIterA=1 readsPerIterA=4 */
/* dataAtIterB=2 numReadsIterB=7 skipReadsIterB=0 readsPerIterB=1 */


/* iter 8 (last unrolled loop) */

/*  grEndMfmaIndex:0, lwStartMfmaIndex:28, lwEndMfmaIndex:28  */
/*  numMfmaForLR:1, barrierMfmaIndex:30 */
/*  mfmaIndex:16  */
_ds_load_u16_d16_hi v81, v[vgprLocalReadAddrA] offset:8960 // L -> Reg lro=4352 swapByteOffset=0 ti=64 vIdx=0 rIdx=1 oIdx=0 buffer=9 iui=0
_ds_load_u16_d16_hi v82, v[vgprLocalReadAddrA] offset:9088 // L -> Reg lro=4352 swapByteOffset=0 ti=64 vIdx=1 rIdx=1 oIdx=0 buffer=9 iui=0
/* localReadsVacancy: latencyLeft 9 */
s_waitcnt lgkmcnt(2)                               // lgkmcnt=0 vmcnt=-1wait for prior local read local write old=0, new=2 newLW=0 newLR=2
/* pack scheduling: packAIdx:1, packBIdx:0 */
v_or_b32 v[vgprValuA_X8_I0+0], v[vgprValuA_X8_I0+0], v79 // pack two half Vgpr to one Vgpr
v_or_b32 v[vgprValuA_X8_I0+1], v[vgprValuA_X8_I0+1], v80 // pack two half Vgpr to one Vgpr
s_nop  0                                           // VALU packing writes to be consumed by matrix instruction
v_mfma_f32_32x32x4bf16 a[0+0:15+0], v[vgprValuA_X8_I0+0+0+0], v[vgprValuB_X8_I0+0+0+0], a[0:15]
/*  mfmaIndex:17  */
/* localReadsVacancy: latencyLeft 13 */
v_mfma_f32_32x32x4bf16 a[16+0:31+0], v[vgprValuA_X8_I0+1+0+0], v[vgprValuB_X8_I0+0+0+0], a[16:31]
/* numPrefetchIter=0 */
/* dataAtIterA=7 numReadsIterA=9 skipReadsIterA=1 readsPerIterA=4 */
/* dataAtIterB=3 numReadsIterB=7 skipReadsIterB=0 readsPerIterB=1 */


/* iter 9 (last unrolled loop) */

/*  grEndMfmaIndex:0, lwStartMfmaIndex:28, lwEndMfmaIndex:28  */
/*  numMfmaForLR:1, barrierMfmaIndex:30 */
/*  mfmaIndex:18  */
_ds_load_u16_d16_hi v79, v[vgprLocalReadAddrA] offset:10496 // L -> Reg lro=5120 swapByteOffset=0 ti=64 vIdx=0 rIdx=1 oIdx=0 buffer=10 iui=0
_ds_load_u16_d16_hi v80, v[vgprLocalReadAddrA] offset:10624 // L -> Reg lro=5120 swapByteOffset=0 ti=64 vIdx=1 rIdx=1 oIdx=0 buffer=10 iui=0
/* localReadsVacancy: latencyLeft 9 */
s_waitcnt lgkmcnt(2)                               // lgkmcnt=0 vmcnt=-1wait for prior local read local write old=0, new=2 newLW=0 newLR=2
/* pack scheduling: packAIdx:1, packBIdx:0 */
v_or_b32 v[vgprValuA_X9_I0+0], v[vgprValuA_X9_I0+0], v81 // pack two half Vgpr to one Vgpr
v_or_b32 v[vgprValuA_X9_I0+1], v[vgprValuA_X9_I0+1], v82 // pack two half Vgpr to one Vgpr
s_nop  0                                           // VALU packing writes to be consumed by matrix instruction
v_mfma_f32_32x32x4bf16 a[0+0:15+0], v[vgprValuA_X9_I0+0+0+0], v[vgprValuB_X8_I0+0+1+0], a[0:15]
/*  mfmaIndex:19  */
/* localReadsVacancy: latencyLeft 13 */
v_mfma_f32_32x32x4bf16 a[16+0:31+0], v[vgprValuA_X9_I0+1+0+0], v[vgprValuB_X8_I0+0+1+0], a[16:31]
/* numPrefetchIter=0 */
/* dataAtIterA=8 numReadsIterA=10 skipReadsIterA=1 readsPerIterA=4 */
/* dataAtIterB=3 numReadsIterB=7 skipReadsIterB=0 readsPerIterB=1 */


/* iter 10 (last unrolled loop) */

/*  grEndMfmaIndex:0, lwStartMfmaIndex:28, lwEndMfmaIndex:28  */
/*  numMfmaForLR:1, barrierMfmaIndex:30 */
/*  mfmaIndex:20  */
_ds_load_u16_d16_hi v81, v[vgprLocalReadAddrA] offset:11008 // L -> Reg lro=5376 swapByteOffset=0 ti=64 vIdx=0 rIdx=1 oIdx=0 buffer=11 iui=0
_ds_load_u16_d16_hi v82, v[vgprLocalReadAddrA] offset:11136 // L -> Reg lro=5376 swapByteOffset=0 ti=64 vIdx=1 rIdx=1 oIdx=0 buffer=11 iui=0
/* localReadsVacancy: latencyLeft 9 */
s_waitcnt lgkmcnt(2)                               // lgkmcnt=0 vmcnt=-1wait for prior local read local write old=0, new=2 newLW=0 newLR=2
/* pack scheduling: packAIdx:1, packBIdx:0 */
v_or_b32 v[vgprValuA_X10_I0+0], v[vgprValuA_X10_I0+0], v79 // pack two half Vgpr to one Vgpr
v_or_b32 v[vgprValuA_X10_I0+1], v[vgprValuA_X10_I0+1], v80 // pack two half Vgpr to one Vgpr
s_nop  0                                           // VALU packing writes to be consumed by matrix instruction
v_mfma_f32_32x32x4bf16 a[0+0:15+0], v[vgprValuA_X10_I0+0+0+0], v[vgprValuB_X10_I0+0+0+0], a[0:15]
/*  mfmaIndex:21  */
/* localReadsVacancy: latencyLeft 13 */
v_mfma_f32_32x32x4bf16 a[16+0:31+0], v[vgprValuA_X10_I0+1+0+0], v[vgprValuB_X10_I0+0+0+0], a[16:31]
/* numPrefetchIter=0 */
/* dataAtIterA=9 numReadsIterA=11 skipReadsIterA=1 readsPerIterA=4 */
/* dataAtIterB=4 numReadsIterB=7 skipReadsIterB=0 readsPerIterB=1 */


/* iter 11 (last unrolled loop) */

/*  grEndMfmaIndex:0, lwStartMfmaIndex:28, lwEndMfmaIndex:28  */
/*  numMfmaForLR:1, barrierMfmaIndex:30 */
/*  mfmaIndex:22  */
_ds_load_u16_d16_hi v79, v[vgprLocalReadAddrA] offset:12544 // L -> Reg lro=6144 swapByteOffset=0 ti=64 vIdx=0 rIdx=1 oIdx=0 buffer=12 iui=0
_ds_load_u16_d16_hi v80, v[vgprLocalReadAddrA] offset:12672 // L -> Reg lro=6144 swapByteOffset=0 ti=64 vIdx=1 rIdx=1 oIdx=0 buffer=12 iui=0
/* localReadsVacancy: latencyLeft 9 */
s_waitcnt lgkmcnt(2)                               // lgkmcnt=0 vmcnt=-1wait for prior local read local write old=0, new=2 newLW=0 newLR=2
/* pack scheduling: packAIdx:1, packBIdx:0 */
v_or_b32 v[vgprValuA_X11_I0+0], v[vgprValuA_X11_I0+0], v81 // pack two half Vgpr to one Vgpr
v_or_b32 v[vgprValuA_X11_I0+1], v[vgprValuA_X11_I0+1], v82 // pack two half Vgpr to one Vgpr
s_nop  0                                           // VALU packing writes to be consumed by matrix instruction
v_mfma_f32_32x32x4bf16 a[0+0:15+0], v[vgprValuA_X11_I0+0+0+0], v[vgprValuB_X10_I0+0+1+0], a[0:15]
/*  mfmaIndex:23  */
/* localReadsVacancy: latencyLeft 13 */
v_mfma_f32_32x32x4bf16 a[16+0:31+0], v[vgprValuA_X11_I0+1+0+0], v[vgprValuB_X10_I0+0+1+0], a[16:31]
/* numPrefetchIter=0 */
/* dataAtIterA=10 numReadsIterA=12 skipReadsIterA=1 readsPerIterA=4 */
/* dataAtIterB=4 numReadsIterB=7 skipReadsIterB=0 readsPerIterB=1 */


/* iter 12 (last unrolled loop) */

/*  grEndMfmaIndex:0, lwStartMfmaIndex:28, lwEndMfmaIndex:28  */
/*  numMfmaForLR:1, barrierMfmaIndex:30 */
/*  mfmaIndex:24  */
_ds_load_u16_d16_hi v81, v[vgprLocalReadAddrA] offset:13056 // L -> Reg lro=6400 swapByteOffset=0 ti=64 vIdx=0 rIdx=1 oIdx=0 buffer=13 iui=0
_ds_load_u16_d16_hi v82, v[vgprLocalReadAddrA] offset:13184 // L -> Reg lro=6400 swapByteOffset=0 ti=64 vIdx=1 rIdx=1 oIdx=0 buffer=13 iui=0
/* localReadsVacancy: latencyLeft 9 */
s_waitcnt lgkmcnt(2)                               // lgkmcnt=0 vmcnt=-1wait for prior local read local write old=0, new=2 newLW=0 newLR=2
/* pack scheduling: packAIdx:1, packBIdx:0 */
v_or_b32 v[vgprValuA_X12_I0+0], v[vgprValuA_X12_I0+0], v79 // pack two half Vgpr to one Vgpr
v_or_b32 v[vgprValuA_X12_I0+1], v[vgprValuA_X12_I0+1], v80 // pack two half Vgpr to one Vgpr
s_nop  0                                           // VALU packing writes to be consumed by matrix instruction
v_mfma_f32_32x32x4bf16 a[0+0:15+0], v[vgprValuA_X12_I0+0+0+0], v[vgprValuB_X12_I0+0+0+0], a[0:15]
/*  mfmaIndex:25  */
/* localReadsVacancy: latencyLeft 13 */
v_mfma_f32_32x32x4bf16 a[16+0:31+0], v[vgprValuA_X12_I0+1+0+0], v[vgprValuB_X12_I0+0+0+0], a[16:31]
/* numPrefetchIter=0 */
/* dataAtIterA=11 numReadsIterA=13 skipReadsIterA=1 readsPerIterA=4 */
/* dataAtIterB=5 numReadsIterB=7 skipReadsIterB=0 readsPerIterB=1 */


/* iter 13 (last unrolled loop) */

/*  grEndMfmaIndex:0, lwStartMfmaIndex:28, lwEndMfmaIndex:28  */
/*  numMfmaForLR:1, barrierMfmaIndex:30 */
/*  mfmaIndex:26  */
_ds_load_u16_d16_hi v79, v[vgprLocalReadAddrA] offset:14592 // L -> Reg lro=7168 swapByteOffset=0 ti=64 vIdx=0 rIdx=1 oIdx=0 buffer=14 iui=0
_ds_load_u16_d16_hi v80, v[vgprLocalReadAddrA] offset:14720 // L -> Reg lro=7168 swapByteOffset=0 ti=64 vIdx=1 rIdx=1 oIdx=0 buffer=14 iui=0
/* localReadsVacancy: latencyLeft 9 */
s_waitcnt lgkmcnt(2)                               // lgkmcnt=0 vmcnt=-1wait for prior local read local write old=0, new=2 newLW=0 newLR=2
/* pack scheduling: packAIdx:1, packBIdx:0 */
v_or_b32 v[vgprValuA_X13_I0+0], v[vgprValuA_X13_I0+0], v81 // pack two half Vgpr to one Vgpr
v_or_b32 v[vgprValuA_X13_I0+1], v[vgprValuA_X13_I0+1], v82 // pack two half Vgpr to one Vgpr
s_nop  0                                           // VALU packing writes to be consumed by matrix instruction
v_mfma_f32_32x32x4bf16 a[0+0:15+0], v[vgprValuA_X13_I0+0+0+0], v[vgprValuB_X12_I0+0+1+0], a[0:15]
/*  mfmaIndex:27  */
/* localReadsVacancy: latencyLeft 13 */
v_mfma_f32_32x32x4bf16 a[16+0:31+0], v[vgprValuA_X13_I0+1+0+0], v[vgprValuB_X12_I0+0+1+0], a[16:31]
/* numPrefetchIter=0 */
/* dataAtIterA=12 numReadsIterA=14 skipReadsIterA=1 readsPerIterA=4 */
/* dataAtIterB=5 numReadsIterB=7 skipReadsIterB=0 readsPerIterB=1 */


/* iter 14 (last unrolled loop) */

/*  grEndMfmaIndex:0, lwStartMfmaIndex:28, lwEndMfmaIndex:28  */
/*  numMfmaForLR:1, barrierMfmaIndex:30 */
/*  mfmaIndex:28  */
_ds_load_u16_d16_hi v81, v[vgprLocalReadAddrA] offset:15104 // L -> Reg lro=7424 swapByteOffset=0 ti=64 vIdx=0 rIdx=1 oIdx=0 buffer=15 iui=0
_ds_load_u16_d16_hi v82, v[vgprLocalReadAddrA] offset:15232 // L -> Reg lro=7424 swapByteOffset=0 ti=64 vIdx=1 rIdx=1 oIdx=0 buffer=15 iui=0
/* localReadsVacancy: latencyLeft 9 */
s_waitcnt lgkmcnt(2)                               // lgkmcnt=0 vmcnt=-1wait for prior local read local write old=0, new=2 newLW=0 newLR=2
/* pack scheduling: packAIdx:1, packBIdx:0 */
v_or_b32 v[vgprValuA_X14_I0+0], v[vgprValuA_X14_I0+0], v79 // pack two half Vgpr to one Vgpr
v_or_b32 v[vgprValuA_X14_I0+1], v[vgprValuA_X14_I0+1], v80 // pack two half Vgpr to one Vgpr
s_nop  0                                           // VALU packing writes to be consumed by matrix instruction
v_mfma_f32_32x32x4bf16 a[0+0:15+0], v[vgprValuA_X14_I0+0+0+0], v[vgprValuB_X14_I0+0+0+0], a[0:15]
/*  mfmaIndex:29  */
/* localReadsVacancy: latencyLeft 13 */
v_mfma_f32_32x32x4bf16 a[16+0:31+0], v[vgprValuA_X14_I0+1+0+0], v[vgprValuB_X14_I0+0+0+0], a[16:31]
/* numPrefetchIter=0 */
/* dataAtIterA=13 numReadsIterA=15 skipReadsIterA=1 readsPerIterA=4 */
/* dataAtIterB=6 numReadsIterB=7 skipReadsIterB=0 readsPerIterB=1 */


/* iter 15 (last unrolled loop) */

/*  grEndMfmaIndex:0, lwStartMfmaIndex:28, lwEndMfmaIndex:28  */
/*  numMfmaForLR:1, barrierMfmaIndex:30 */
/*  mfmaIndex:30  */
s_waitcnt lgkmcnt(0)                               // lgkmcnt=0 vmcnt=-1wait for prior local read local write old=0, new=0 newLW=0 newLR=0
/* pack scheduling: packAIdx:1, packBIdx:0 */
v_or_b32 v[vgprValuA_X15_I0+0], v[vgprValuA_X15_I0+0], v81 // pack two half Vgpr to one Vgpr
v_or_b32 v[vgprValuA_X15_I0+1], v[vgprValuA_X15_I0+1], v82 // pack two half Vgpr to one Vgpr
s_nop  0                                           // VALU packing writes to be consumed by matrix instruction
v_mfma_f32_32x32x4bf16 a[0+0:15+0], v[vgprValuA_X15_I0+0+0+0], v[vgprValuB_X14_I0+0+1+0], a[0:15]
/*  mfmaIndex:31  */
v_mfma_f32_32x32x4bf16 a[16+0:31+0], v[vgprValuA_X15_I0+1+0+0], v[vgprValuB_X14_I0+0+1+0], a[16:31]
/* numPrefetchIter=0 */
/* dataAtIterA=14 numReadsIterA=15 skipReadsIterA=0 readsPerIterA=4 */
/* dataAtIterB=6 numReadsIterB=7 skipReadsIterB=0 readsPerIterB=1 */

PrefetchGlobalLastIterEnd_5:


/******************************************/
/* Tail Loop                              */
/******************************************/


/* local write reset offsets a */


v_and_b32 v[vgprLocalWriteAddrA], 0xf07fff, v[vgprLocalWriteAddrA] // reset to Red


/* local write reset offsets b */


v_and_b32 v[vgprLocalWriteAddrB], 0xf07fff, v[vgprLocalWriteAddrB] // reset to Red


//numIterL = (((sizeL % LOCAL_DEPTHU) + LOCAL_SPLITU - 1) / LOCAL_SPLITU)
s_and_b32 s[sgprLoopCounterL], 63, s[sgprSizesSum+0] // s[sgprLoopCounterL] = s[sgprSizesSum+0] % 64
s_cmp_lg_u32 s[sgprGSUSumIdx], s[sgprGSUSumIdx+1]  // gsuSumIdx == numIterPerWgRemainder
s_cmov_b32 s[sgprLoopCounterL], 0x0                // numIter=0 if gsuSumIdx!=remainder
s_cmp_eq_u32 s[sgprLoopCounterL], 0x0              // numIterL == 0
s_cbranch_scc1 SkipTailLoopL_8                     // skip to end of tail loop b/c numIter==0
s_mov_b32 s[sgprOrigLoopCounter], 0                // repurpose to count each localRead increment


/* Update M0 for DTLDS */


	;; [unrolled: 1-line block ×3, first 2 shown]
/* global read a */

/* g2l=0, load component 0 */
_buffer_load_b128 v[vgprG2LA+0+0:vgprG2LA+0+0+3], v[vgprGlobalReadOffsetA+0], s[sgprSrdA:sgprSrdA+3], 0, offen offset:0 // load packed 8X buffer value
/* g2l=4, load component 0 */
_buffer_load_b128 v[vgprG2LA+4+0:vgprG2LA+4+0+3], v[vgprGlobalReadOffsetA+0], s[sgprSrdA:sgprSrdA+3], s[sgprScalarGlobalReadOffsetA+0], offen offset:0 // load packed 8X buffer value
/* g2l=8, load component 0 */
_buffer_load_b128 v[vgprG2LA+8+0:vgprG2LA+8+0+3], v[vgprGlobalReadOffsetA+0], s[sgprSrdA:sgprSrdA+3], s[sgprScalarGlobalReadOffsetA+1], offen offset:0 // load packed 8X buffer value
	;; [unrolled: 2-line block ×3, first 2 shown]


/* Update M0 for DTLDS */


	;; [unrolled: 1-line block ×3, first 2 shown]
/* global read b */

/* g2l=0, load component 0 */
_buffer_load_d16_b16 v[vgprG2LB+0+0], v[vgprGlobalReadOffsetB+0], s[sgprSrdB:sgprSrdB+3], 0, offen offset:0 // load one buffer value
/* g2l=0, load component 1 */
_buffer_load_d16_hi_b16 v79, v[vgprGlobalReadOffsetB+0], s[sgprSrdB:sgprSrdB+3], 0, offen offset:2 // load one buffer value
s_waitcnt vmcnt(0)
v_or_b32 v[vgprG2LB+0+0], v[vgprG2LB+0+0], v79 // HasEccHalf: pack
/* g2l=0, load component 2 */
_buffer_load_d16_b16 v[vgprG2LB+0+1], v[vgprGlobalReadOffsetB+0], s[sgprSrdB:sgprSrdB+3], 0, offen offset:4 // load one buffer value
/* g2l=0, load component 3 */
_buffer_load_d16_hi_b16 v79, v[vgprGlobalReadOffsetB+0], s[sgprSrdB:sgprSrdB+3], 0, offen offset:6 // load one buffer value
s_waitcnt vmcnt(0)
v_or_b32 v[vgprG2LB+0+1], v[vgprG2LB+0+1], v79 // HasEccHalf: pack
	;; [unrolled: 6-line block ×4, first 2 shown]
/* g2l=4, load component 0 */
_buffer_load_d16_b16 v[vgprG2LB+4+0], v[vgprGlobalReadOffsetB+0], s[sgprSrdB:sgprSrdB+3], s[sgprScalarGlobalReadOffsetB+0], offen offset:0 // load one buffer value
/* g2l=4, load component 1 */
_buffer_load_d16_hi_b16 v79, v[vgprGlobalReadOffsetB+0], s[sgprSrdB:sgprSrdB+3], s[sgprScalarGlobalReadOffsetB+0], offen offset:2 // load one buffer value
s_waitcnt vmcnt(0)
v_or_b32 v[vgprG2LB+4+0], v[vgprG2LB+4+0], v79 // HasEccHalf: pack
/* g2l=4, load component 2 */
_buffer_load_d16_b16 v[vgprG2LB+4+1], v[vgprGlobalReadOffsetB+0], s[sgprSrdB:sgprSrdB+3], s[sgprScalarGlobalReadOffsetB+0], offen offset:4 // load one buffer value
/* g2l=4, load component 3 */
_buffer_load_d16_hi_b16 v79, v[vgprGlobalReadOffsetB+0], s[sgprSrdB:sgprSrdB+3], s[sgprScalarGlobalReadOffsetB+0], offen offset:6 // load one buffer value
s_waitcnt vmcnt(0)
v_or_b32 v[vgprG2LB+4+1], v[vgprG2LB+4+1], v79 // HasEccHalf: pack
	;; [unrolled: 6-line block ×4, first 2 shown]

s_waitcnt vmcnt(0)                                 // lgkmcnt=-1 vmcnt=02wait for global read

s_waitcnt lgkmcnt(0) & vmcnt(0)                    // force waitcnt0
s_barrier //


/* Done global A/B reads */


	;; [unrolled: 1-line block ×4, first 2 shown]
/* local write a */

_ds_store_b128 v[vgprLocalWriteAddrA], v[vgprG2LA+0:vgprG2LA+0+3] offset:0 // lwoA_0_0_0_0 = (0*LSCA) + (0*LSPA)(*MT0I+PAD) = 0
_ds_store_b128 v[vgprLocalWriteAddrA], v[vgprG2LA+4:vgprG2LA+4+3] offset:1024 // lwoA_0_0_1_0 = (0*LSCA) + (1*LSPA)(*MT0I+PAD) = 1024
_ds_store_b128 v[vgprLocalWriteAddrA], v[vgprG2LA+8:vgprG2LA+8+3] offset:2048 // lwoA_0_0_2_0 = (0*LSCA) + (2*LSPA)(*MT0I+PAD) = 2048
_ds_store_b128 v[vgprLocalWriteAddrA], v[vgprG2LA+12:vgprG2LA+12+3] offset:3072 // lwoA_0_0_3_0 = (0*LSCA) + (3*LSPA)(*MT0I+PAD) = 3072


/* local write b */

_ds_store_b128 v[vgprLocalWriteAddrB], v[vgprG2LB+0:vgprG2LB+0+3] offset:0 // lwoB_0_0_0_0 = (0*LSCB)*(MT1J+PAD) + (0*LSPB) = 0
_ds_store_b128 v[vgprLocalWriteAddrB], v[vgprG2LB+4:vgprG2LB+4+3] offset:1152 // lwoB_0_0_1_0 = (0*LSCB)*(MT1J+PAD) + (1*LSPB) = 1152


/* Recalc local read offsets */

/*lr0I*/
v_and_b32 v80, 63, v[vgprSerial]                   // 0. thread id in wave: wtid = tid % wavelength(64)
v_and_b32 v79, 31, v80                             // 1. N offset: nIdx = wtid % MI_N(32)
                                                   // 1. N offset: nOffset = nIdx * nStride(1) (multiplier is 1, do nothing)
                                                   // 2. block offset: bnIdx = bnIdx % num1DBlocks(1) is 0. do nothing
                                                   // 4. apply VectorWidth: bnOffset = bnOffset * vw(1) (multiplier is 1, do nothing)
v_lshrrev_b32 v80, 5, v80                          // 5. K offset: kIdx = wtid / (MIN(32) * MIBB(1))
v_lshlrev_b32 v80, 0x8, v80                        // 5. K offset: lrKOffset = kIdx * mStride(256)
_v_add_u32 v79, v80, v79                           // 6. offset in wave: lrOffset = bnOffset + lrKOffset
v_lshrrev_b32 v81, 6, v[vgprSerial]                // 7. wave offset in N dimen: wtid = tid / dividedForWaveId(64)
v_and_b32 v80, 1, v81                              // 7. wave offset in M dimen: wtid0 = wtid / num1DWaves(2)
v_lshlrev_b32 v80, 0x5, v80                        // 7. wave offset in M dimen: wOffset = wtid0 * W0Stride(32)
_v_add_u32 v79, v80, v79                           // 8. final local read offset: flrOffset = lrOffset + WOffset
/*lr1J*/
v_and_b32 v81, 63, v[vgprSerial]                   // 0. thread id in wave: wtid = tid % wavelength(64)
v_and_b32 v80, 31, v81                             // 1. N offset: nIdx = wtid % MI_N(32)
v_lshlrev_b32 v80, 0x6, v80                        // 1. N offset: nOffset = nIdx * nStride(64)
                                                   // 2. block offset: bnIdx = bnIdx % num1DBlocks(1) is 0. do nothing
                                                   // 4. apply VectorWidth: bnOffset = bnOffset * vw(1) (multiplier is 1, do nothing)
v_lshrrev_b32 v81, 5, v81                          // 5. K offset: kIdx = wtid / (MIN(32) * MIBB(1))
v_lshlrev_b32 v81, 0x1, v81                        // 5. K offset: lrKOffset = kIdx * mStride(2)
_v_add_u32 v80, v81, v80                           // 6. offset in wave: lrOffset = bnOffset + lrKOffset
v_lshrrev_b32 v82, 7, v[vgprSerial]                // 7. wave offset in N dimen: wtid = tid / dividedForWaveId(128)
v_and_b32 v81, 1, v82                              // 7. wave offset in M dimen: wtid0 = wtid / num1DWaves(2)
v_lshlrev_b32 v81, 0xb, v81                        // 7. wave offset in M dimen: wOffset = wtid0 * W0Stride(2048)
_v_add_u32 v80, v81, v80                           // 8. final local read offset: flrOffset = lrOffset + WOffset
v_lshlrev_b32 v[vgprLocalReadAddrA], 0x1, v79      // Final Offset: offset = (lro0)*bpe
/* N/A */
v_lshlrev_b32 v[vgprLocalReadAddrB], 0x1, v80      // Final Offset: offset = (lro1)*bpe
v_lshrrev_b32 v79, 7, v[vgprLocalReadAddrB]        // Final Offset: padding 8 per block 128
v_lshlrev_b32 v79, 0x4, v79                        // Final Offset: padding 8 per block 128
_v_add_u32 v[vgprLocalReadAddrB], v79, v[vgprLocalReadAddrB] // Final Offset: add padding 8 per block 128
_v_add_co_u32 v[vgprLocalReadAddrB+0], vcc, 0x4000, v[vgprLocalReadAddrB+0] //  += LdsOffsetB (lower)

s_waitcnt lgkmcnt(0)                               // lgkmcnt=0 vmcnt=-15wait for local write

s_waitcnt lgkmcnt(0) & vmcnt(0)                    // force waitcnt0
s_barrier //


/* local read reset offsets a */


/* localReadResetOffsets */
/* handled internally */
v_and_b32 v[vgprLocalReadAddrA], 0x7fff, v[vgprLocalReadAddrA] // reset Red,Blk -> Red


/* local read reset offsets b */


/* localReadResetOffsets */
/* handled internally */
v_and_b32 v[vgprLocalReadAddrB], 0x7fff, v[vgprLocalReadAddrB] // reset Red,Blk -> Red


/* local read init pointers a */


/* localReadInitPointers */


/* local read init pointers b */


/* localReadInitPointers */


/* tail loop: macs */

TailLoopBeginL_6:


/* tail loop unroll iter 0 */


/* local read a */

_ds_load_u16 v[vgprValuA_X0_I0+0], v[vgprLocalReadAddrA] offset:0 // L -> Reg lro=0 swapByteOffset=0 ti=64 vIdx=0 rIdx=0 oIdx=0 buffer=0 iui=0
_ds_load_u16_d16_hi v79, v[vgprLocalReadAddrA] offset:256 // L -> Reg lro=0 swapByteOffset=0 ti=64 vIdx=0 rIdx=1 oIdx=0 buffer=0 iui=0
_ds_load_u16 v[vgprValuA_X0_I0+1], v[vgprLocalReadAddrA] offset:128 // L -> Reg lro=0 swapByteOffset=0 ti=64 vIdx=1 rIdx=0 oIdx=0 buffer=0 iui=0
_ds_load_u16_d16_hi v80, v[vgprLocalReadAddrA] offset:384 // L -> Reg lro=0 swapByteOffset=0 ti=64 vIdx=1 rIdx=1 oIdx=0 buffer=0 iui=0


/* local read b */

_ds_load_b32 v[vgprValuB_X0_I0+0], v[vgprLocalReadAddrB] offset:0 // L -> Reg lro=0 swapByteOffset=0 ti=64 vIdx=0 rIdx=0 oIdx=0 buffer=0 iui=0


/* local read inc a */

s_mov_b32 s10, 0x400                               // inc
_v_add_co_u32 v[vgprLocalReadAddrA], vcc, s10, v[vgprLocalReadAddrA] // lrA += 1024 (LSU*(MT+PAD)*bpe)


/* local read inc b */

s_mov_b32 s10, 0x8                                 // inc
_v_add_co_u32 v[vgprLocalReadAddrB], vcc, s10, v[vgprLocalReadAddrB] // lrB += 8 (LSU*bpe)

s_waitcnt lgkmcnt(0)                               // lgkmcnt=0 vmcnt=-14wait for local read

v_or_b32 v[vgprValuA_X0_I0+0], v[vgprValuA_X0_I0+0], v79 // pack two half Vgpr to one Vgpr
v_or_b32 v[vgprValuA_X0_I0+1], v[vgprValuA_X0_I0+1], v80 // pack two half Vgpr to one Vgpr


/* tail loop mfma iter 0: numReadsIterCoalescedA=1, numReadsIterCoalescedB=1 */
v_and_b32 v79, 63, v[vgprSerial]                   // v79 = v[vgprSerial] % 64
v_lshrrev_b32 v79, 5, v79                          // v79 = v79 / 32
v_lshlrev_b32 v79, 0x1, v79                        // v79 = v79 * 2
v_cmp_ge_i32 s[60:61], v79, s[sgprLoopCounterL]    // check K index >= Size L
v_cndmask_b32 v[vgprValuB_X0_I0+0+0+0+0], v[vgprValuB_X0_I0+0+0+0+0], 0x0, s[60:61] // set 0 if K_idx >= sizeL
_v_sub_u32 v79, s[sgprLoopCounterL], v79           // get distance between size and k index
v_cmp_lt_i32 s[60:61], v79, 2                      // set partial 0 if distance less than input per thread
s_and_b32 s62, s[sgprLoopCounterL], 1              // get inputs for edge thread
s_sub_u32 s62, 2, s62                              // use shift to fill 0 for outside element
s_lshl_b32 s62, s62, 4                             // use shift to fill 0 for outside element
v_mov_b32 v80, -1                                  // set 0xffffffff
v_lshrrev_b32 v80, s62, v80                        // rshift mask for partial k
v_cndmask_b32 v80, -1, v80, s[60:61]               // select shifted mask for partial k
v_and_b32 v[vgprValuB_X0_I0+0+0+0+0], v[vgprValuB_X0_I0+0+0+0+0], v80 // 
s_nop 1
v_mfma_f32_32x32x4bf16 a[0+0:15+0], v[vgprValuA_X0_I0+0+0+0], v[vgprValuB_X0_I0+0+0+0], a[0:15]
v_mfma_f32_32x32x4bf16 a[16+0:31+0], v[vgprValuA_X0_I0+1+0+0], v[vgprValuB_X0_I0+0+0+0], a[16:31]


/* closeLoop loopL finalLoop=0 tailLoop=1 */
s_sub_i32 s[sgprLoopCounterL], s[sgprLoopCounterL], 0x4 // dec counterL (tailLoop)
s_add_u32 s[sgprOrigLoopCounter], s[sgprOrigLoopCounter], 0x4 // inc counterL
s_cmp_le_i32 s[sgprLoopCounterL], 0x0              // counterL<=0
s_cbranch_scc1 TailLoopEndL_7                      // exit LoopL


/* tail loop unroll iter 1 */


/* local read a */

_ds_load_u16 v[vgprValuA_X1_I0+0], v[vgprLocalReadAddrA] offset:0 // L -> Reg lro=0 swapByteOffset=0 ti=64 vIdx=0 rIdx=0 oIdx=0 buffer=1 iui=0
_ds_load_u16_d16_hi v79, v[vgprLocalReadAddrA] offset:256 // L -> Reg lro=0 swapByteOffset=0 ti=64 vIdx=0 rIdx=1 oIdx=0 buffer=1 iui=0
_ds_load_u16 v[vgprValuA_X1_I0+1], v[vgprLocalReadAddrA] offset:128 // L -> Reg lro=0 swapByteOffset=0 ti=64 vIdx=1 rIdx=0 oIdx=0 buffer=1 iui=0
_ds_load_u16_d16_hi v80, v[vgprLocalReadAddrA] offset:384 // L -> Reg lro=0 swapByteOffset=0 ti=64 vIdx=1 rIdx=1 oIdx=0 buffer=1 iui=0


/* local read b */

_ds_load_b32 v[vgprValuB_X1_I0+0], v[vgprLocalReadAddrB] offset:0 // L -> Reg lro=0 swapByteOffset=0 ti=64 vIdx=0 rIdx=0 oIdx=0 buffer=1 iui=0


/* local read inc a */

s_mov_b32 s10, 0x400                               // inc
_v_add_co_u32 v[vgprLocalReadAddrA], vcc, s10, v[vgprLocalReadAddrA] // lrA += 1024 (LSU*(MT+PAD)*bpe)


/* local read inc b */

s_mov_b32 s10, 0x8                                 // inc
_v_add_co_u32 v[vgprLocalReadAddrB], vcc, s10, v[vgprLocalReadAddrB] // lrB += 8 (LSU*bpe)

s_waitcnt lgkmcnt(0)                               // lgkmcnt=0 vmcnt=-14wait for local read

v_or_b32 v[vgprValuA_X1_I0+0], v[vgprValuA_X1_I0+0], v79 // pack two half Vgpr to one Vgpr
v_or_b32 v[vgprValuA_X1_I0+1], v[vgprValuA_X1_I0+1], v80 // pack two half Vgpr to one Vgpr


/* tail loop mfma iter 1: numReadsIterCoalescedA=1, numReadsIterCoalescedB=1 */
v_and_b32 v79, 63, v[vgprSerial]                   // v79 = v[vgprSerial] % 64
v_lshrrev_b32 v79, 5, v79                          // v79 = v79 / 32
v_lshlrev_b32 v79, 0x1, v79                        // v79 = v79 * 2
v_cmp_ge_i32 s[60:61], v79, s[sgprLoopCounterL]    // check K index >= Size L
v_cndmask_b32 v[vgprValuB_X1_I0+0+0+0+0], v[vgprValuB_X1_I0+0+0+0+0], 0x0, s[60:61] // set 0 if K_idx >= sizeL
_v_sub_u32 v79, s[sgprLoopCounterL], v79           // get distance between size and k index
v_cmp_lt_i32 s[60:61], v79, 2                      // set partial 0 if distance less than input per thread
s_and_b32 s62, s[sgprLoopCounterL], 1              // get inputs for edge thread
s_sub_u32 s62, 2, s62                              // use shift to fill 0 for outside element
s_lshl_b32 s62, s62, 4                             // use shift to fill 0 for outside element
v_mov_b32 v80, -1                                  // set 0xffffffff
v_lshrrev_b32 v80, s62, v80                        // rshift mask for partial k
v_cndmask_b32 v80, -1, v80, s[60:61]               // select shifted mask for partial k
v_and_b32 v[vgprValuB_X1_I0+0+0+0+0], v[vgprValuB_X1_I0+0+0+0+0], v80 // 
s_nop 1
v_mfma_f32_32x32x4bf16 a[0+0:15+0], v[vgprValuA_X1_I0+0+0+0], v[vgprValuB_X1_I0+0+0+0], a[0:15]
v_mfma_f32_32x32x4bf16 a[16+0:31+0], v[vgprValuA_X1_I0+1+0+0], v[vgprValuB_X1_I0+0+0+0], a[16:31]


/* closeLoop loopL finalLoop=0 tailLoop=1 */
s_sub_i32 s[sgprLoopCounterL], s[sgprLoopCounterL], 0x4 // dec counterL (tailLoop)
s_add_u32 s[sgprOrigLoopCounter], s[sgprOrigLoopCounter], 0x4 // inc counterL
s_cmp_le_i32 s[sgprLoopCounterL], 0x0              // counterL<=0
s_cbranch_scc1 TailLoopEndL_7                      // exit LoopL


/* tail loop unroll iter 2 */


/* local read a */

_ds_load_u16 v[vgprValuA_X2_I0+0], v[vgprLocalReadAddrA] offset:0 // L -> Reg lro=0 swapByteOffset=0 ti=64 vIdx=0 rIdx=0 oIdx=0 buffer=2 iui=0
_ds_load_u16_d16_hi v79, v[vgprLocalReadAddrA] offset:256 // L -> Reg lro=0 swapByteOffset=0 ti=64 vIdx=0 rIdx=1 oIdx=0 buffer=2 iui=0
_ds_load_u16 v[vgprValuA_X2_I0+1], v[vgprLocalReadAddrA] offset:128 // L -> Reg lro=0 swapByteOffset=0 ti=64 vIdx=1 rIdx=0 oIdx=0 buffer=2 iui=0
_ds_load_u16_d16_hi v80, v[vgprLocalReadAddrA] offset:384 // L -> Reg lro=0 swapByteOffset=0 ti=64 vIdx=1 rIdx=1 oIdx=0 buffer=2 iui=0


/* local read b */

_ds_load_b32 v[vgprValuB_X2_I0+0], v[vgprLocalReadAddrB] offset:0 // L -> Reg lro=0 swapByteOffset=0 ti=64 vIdx=0 rIdx=0 oIdx=0 buffer=2 iui=0


/* local read inc a */

s_mov_b32 s10, 0x400                               // inc
_v_add_co_u32 v[vgprLocalReadAddrA], vcc, s10, v[vgprLocalReadAddrA] // lrA += 1024 (LSU*(MT+PAD)*bpe)


/* local read inc b */

s_mov_b32 s10, 0x8                                 // inc
_v_add_co_u32 v[vgprLocalReadAddrB], vcc, s10, v[vgprLocalReadAddrB] // lrB += 8 (LSU*bpe)

s_waitcnt lgkmcnt(0)                               // lgkmcnt=0 vmcnt=-14wait for local read

v_or_b32 v[vgprValuA_X2_I0+0], v[vgprValuA_X2_I0+0], v79 // pack two half Vgpr to one Vgpr
v_or_b32 v[vgprValuA_X2_I0+1], v[vgprValuA_X2_I0+1], v80 // pack two half Vgpr to one Vgpr


/* tail loop mfma iter 2: numReadsIterCoalescedA=1, numReadsIterCoalescedB=1 */
v_and_b32 v79, 63, v[vgprSerial]                   // v79 = v[vgprSerial] % 64
v_lshrrev_b32 v79, 5, v79                          // v79 = v79 / 32
v_lshlrev_b32 v79, 0x1, v79                        // v79 = v79 * 2
v_cmp_ge_i32 s[60:61], v79, s[sgprLoopCounterL]    // check K index >= Size L
v_cndmask_b32 v[vgprValuB_X2_I0+0+0+0+0], v[vgprValuB_X2_I0+0+0+0+0], 0x0, s[60:61] // set 0 if K_idx >= sizeL
_v_sub_u32 v79, s[sgprLoopCounterL], v79           // get distance between size and k index
v_cmp_lt_i32 s[60:61], v79, 2                      // set partial 0 if distance less than input per thread
s_and_b32 s62, s[sgprLoopCounterL], 1              // get inputs for edge thread
s_sub_u32 s62, 2, s62                              // use shift to fill 0 for outside element
s_lshl_b32 s62, s62, 4                             // use shift to fill 0 for outside element
v_mov_b32 v80, -1                                  // set 0xffffffff
v_lshrrev_b32 v80, s62, v80                        // rshift mask for partial k
v_cndmask_b32 v80, -1, v80, s[60:61]               // select shifted mask for partial k
v_and_b32 v[vgprValuB_X2_I0+0+0+0+0], v[vgprValuB_X2_I0+0+0+0+0], v80 // 
s_nop 1
v_mfma_f32_32x32x4bf16 a[0+0:15+0], v[vgprValuA_X2_I0+0+0+0], v[vgprValuB_X2_I0+0+0+0], a[0:15]
v_mfma_f32_32x32x4bf16 a[16+0:31+0], v[vgprValuA_X2_I0+1+0+0], v[vgprValuB_X2_I0+0+0+0], a[16:31]


/* closeLoop loopL finalLoop=0 tailLoop=1 */
s_sub_i32 s[sgprLoopCounterL], s[sgprLoopCounterL], 0x4 // dec counterL (tailLoop)
s_add_u32 s[sgprOrigLoopCounter], s[sgprOrigLoopCounter], 0x4 // inc counterL
s_cmp_le_i32 s[sgprLoopCounterL], 0x0              // counterL<=0
s_cbranch_scc1 TailLoopEndL_7                      // exit LoopL


/* tail loop unroll iter 3 */


/* local read a */

_ds_load_u16 v[vgprValuA_X3_I0+0], v[vgprLocalReadAddrA] offset:0 // L -> Reg lro=0 swapByteOffset=0 ti=64 vIdx=0 rIdx=0 oIdx=0 buffer=3 iui=0
_ds_load_u16_d16_hi v79, v[vgprLocalReadAddrA] offset:256 // L -> Reg lro=0 swapByteOffset=0 ti=64 vIdx=0 rIdx=1 oIdx=0 buffer=3 iui=0
_ds_load_u16 v[vgprValuA_X3_I0+1], v[vgprLocalReadAddrA] offset:128 // L -> Reg lro=0 swapByteOffset=0 ti=64 vIdx=1 rIdx=0 oIdx=0 buffer=3 iui=0
_ds_load_u16_d16_hi v80, v[vgprLocalReadAddrA] offset:384 // L -> Reg lro=0 swapByteOffset=0 ti=64 vIdx=1 rIdx=1 oIdx=0 buffer=3 iui=0


/* local read b */

_ds_load_b32 v[vgprValuB_X3_I0+0], v[vgprLocalReadAddrB] offset:0 // L -> Reg lro=0 swapByteOffset=0 ti=64 vIdx=0 rIdx=0 oIdx=0 buffer=3 iui=0


/* local read inc a */

s_mov_b32 s10, 0x400                               // inc
_v_add_co_u32 v[vgprLocalReadAddrA], vcc, s10, v[vgprLocalReadAddrA] // lrA += 1024 (LSU*(MT+PAD)*bpe)


/* local read inc b */

s_mov_b32 s10, 0x8                                 // inc
_v_add_co_u32 v[vgprLocalReadAddrB], vcc, s10, v[vgprLocalReadAddrB] // lrB += 8 (LSU*bpe)

s_waitcnt lgkmcnt(0)                               // lgkmcnt=0 vmcnt=-14wait for local read

v_or_b32 v[vgprValuA_X3_I0+0], v[vgprValuA_X3_I0+0], v79 // pack two half Vgpr to one Vgpr
v_or_b32 v[vgprValuA_X3_I0+1], v[vgprValuA_X3_I0+1], v80 // pack two half Vgpr to one Vgpr


/* tail loop mfma iter 3: numReadsIterCoalescedA=1, numReadsIterCoalescedB=1 */
v_and_b32 v79, 63, v[vgprSerial]                   // v79 = v[vgprSerial] % 64
v_lshrrev_b32 v79, 5, v79                          // v79 = v79 / 32
v_lshlrev_b32 v79, 0x1, v79                        // v79 = v79 * 2
v_cmp_ge_i32 s[60:61], v79, s[sgprLoopCounterL]    // check K index >= Size L
v_cndmask_b32 v[vgprValuB_X3_I0+0+0+0+0], v[vgprValuB_X3_I0+0+0+0+0], 0x0, s[60:61] // set 0 if K_idx >= sizeL
_v_sub_u32 v79, s[sgprLoopCounterL], v79           // get distance between size and k index
v_cmp_lt_i32 s[60:61], v79, 2                      // set partial 0 if distance less than input per thread
s_and_b32 s62, s[sgprLoopCounterL], 1              // get inputs for edge thread
s_sub_u32 s62, 2, s62                              // use shift to fill 0 for outside element
s_lshl_b32 s62, s62, 4                             // use shift to fill 0 for outside element
v_mov_b32 v80, -1                                  // set 0xffffffff
v_lshrrev_b32 v80, s62, v80                        // rshift mask for partial k
v_cndmask_b32 v80, -1, v80, s[60:61]               // select shifted mask for partial k
v_and_b32 v[vgprValuB_X3_I0+0+0+0+0], v[vgprValuB_X3_I0+0+0+0+0], v80 // 
s_nop 1
v_mfma_f32_32x32x4bf16 a[0+0:15+0], v[vgprValuA_X3_I0+0+0+0], v[vgprValuB_X3_I0+0+0+0], a[0:15]
v_mfma_f32_32x32x4bf16 a[16+0:31+0], v[vgprValuA_X3_I0+1+0+0], v[vgprValuB_X3_I0+0+0+0], a[16:31]


/* closeLoop loopL finalLoop=0 tailLoop=1 */
s_sub_i32 s[sgprLoopCounterL], s[sgprLoopCounterL], 0x4 // dec counterL (tailLoop)
s_add_u32 s[sgprOrigLoopCounter], s[sgprOrigLoopCounter], 0x4 // inc counterL
s_cmp_le_i32 s[sgprLoopCounterL], 0x0              // counterL<=0
s_cbranch_scc1 TailLoopEndL_7                      // exit LoopL


/* tail loop unroll iter 4 */


/* local read a */

_ds_load_u16 v[vgprValuA_X4_I0+0], v[vgprLocalReadAddrA] offset:0 // L -> Reg lro=0 swapByteOffset=0 ti=64 vIdx=0 rIdx=0 oIdx=0 buffer=4 iui=0
_ds_load_u16_d16_hi v79, v[vgprLocalReadAddrA] offset:256 // L -> Reg lro=0 swapByteOffset=0 ti=64 vIdx=0 rIdx=1 oIdx=0 buffer=4 iui=0
_ds_load_u16 v[vgprValuA_X4_I0+1], v[vgprLocalReadAddrA] offset:128 // L -> Reg lro=0 swapByteOffset=0 ti=64 vIdx=1 rIdx=0 oIdx=0 buffer=4 iui=0
_ds_load_u16_d16_hi v80, v[vgprLocalReadAddrA] offset:384 // L -> Reg lro=0 swapByteOffset=0 ti=64 vIdx=1 rIdx=1 oIdx=0 buffer=4 iui=0


/* local read b */

_ds_load_b32 v[vgprValuB_X4_I0+0], v[vgprLocalReadAddrB] offset:0 // L -> Reg lro=0 swapByteOffset=0 ti=64 vIdx=0 rIdx=0 oIdx=0 buffer=4 iui=0


/* local read inc a */

s_mov_b32 s10, 0x400                               // inc
_v_add_co_u32 v[vgprLocalReadAddrA], vcc, s10, v[vgprLocalReadAddrA] // lrA += 1024 (LSU*(MT+PAD)*bpe)


/* local read inc b */

s_mov_b32 s10, 0x8                                 // inc
_v_add_co_u32 v[vgprLocalReadAddrB], vcc, s10, v[vgprLocalReadAddrB] // lrB += 8 (LSU*bpe)

s_waitcnt lgkmcnt(0)                               // lgkmcnt=0 vmcnt=-14wait for local read

v_or_b32 v[vgprValuA_X4_I0+0], v[vgprValuA_X4_I0+0], v79 // pack two half Vgpr to one Vgpr
v_or_b32 v[vgprValuA_X4_I0+1], v[vgprValuA_X4_I0+1], v80 // pack two half Vgpr to one Vgpr


/* tail loop mfma iter 4: numReadsIterCoalescedA=1, numReadsIterCoalescedB=1 */
v_and_b32 v79, 63, v[vgprSerial]                   // v79 = v[vgprSerial] % 64
v_lshrrev_b32 v79, 5, v79                          // v79 = v79 / 32
v_lshlrev_b32 v79, 0x1, v79                        // v79 = v79 * 2
v_cmp_ge_i32 s[60:61], v79, s[sgprLoopCounterL]    // check K index >= Size L
v_cndmask_b32 v[vgprValuB_X4_I0+0+0+0+0], v[vgprValuB_X4_I0+0+0+0+0], 0x0, s[60:61] // set 0 if K_idx >= sizeL
_v_sub_u32 v79, s[sgprLoopCounterL], v79           // get distance between size and k index
v_cmp_lt_i32 s[60:61], v79, 2                      // set partial 0 if distance less than input per thread
s_and_b32 s62, s[sgprLoopCounterL], 1              // get inputs for edge thread
s_sub_u32 s62, 2, s62                              // use shift to fill 0 for outside element
s_lshl_b32 s62, s62, 4                             // use shift to fill 0 for outside element
v_mov_b32 v80, -1                                  // set 0xffffffff
v_lshrrev_b32 v80, s62, v80                        // rshift mask for partial k
v_cndmask_b32 v80, -1, v80, s[60:61]               // select shifted mask for partial k
v_and_b32 v[vgprValuB_X4_I0+0+0+0+0], v[vgprValuB_X4_I0+0+0+0+0], v80 // 
s_nop 1
v_mfma_f32_32x32x4bf16 a[0+0:15+0], v[vgprValuA_X4_I0+0+0+0], v[vgprValuB_X4_I0+0+0+0], a[0:15]
v_mfma_f32_32x32x4bf16 a[16+0:31+0], v[vgprValuA_X4_I0+1+0+0], v[vgprValuB_X4_I0+0+0+0], a[16:31]


/* closeLoop loopL finalLoop=0 tailLoop=1 */
s_sub_i32 s[sgprLoopCounterL], s[sgprLoopCounterL], 0x4 // dec counterL (tailLoop)
s_add_u32 s[sgprOrigLoopCounter], s[sgprOrigLoopCounter], 0x4 // inc counterL
s_cmp_le_i32 s[sgprLoopCounterL], 0x0              // counterL<=0
s_cbranch_scc1 TailLoopEndL_7                      // exit LoopL


/* tail loop unroll iter 5 */


/* local read a */

_ds_load_u16 v[vgprValuA_X5_I0+0], v[vgprLocalReadAddrA] offset:0 // L -> Reg lro=0 swapByteOffset=0 ti=64 vIdx=0 rIdx=0 oIdx=0 buffer=5 iui=0
_ds_load_u16_d16_hi v79, v[vgprLocalReadAddrA] offset:256 // L -> Reg lro=0 swapByteOffset=0 ti=64 vIdx=0 rIdx=1 oIdx=0 buffer=5 iui=0
_ds_load_u16 v[vgprValuA_X5_I0+1], v[vgprLocalReadAddrA] offset:128 // L -> Reg lro=0 swapByteOffset=0 ti=64 vIdx=1 rIdx=0 oIdx=0 buffer=5 iui=0
_ds_load_u16_d16_hi v80, v[vgprLocalReadAddrA] offset:384 // L -> Reg lro=0 swapByteOffset=0 ti=64 vIdx=1 rIdx=1 oIdx=0 buffer=5 iui=0


/* local read b */

_ds_load_b32 v[vgprValuB_X5_I0+0], v[vgprLocalReadAddrB] offset:0 // L -> Reg lro=0 swapByteOffset=0 ti=64 vIdx=0 rIdx=0 oIdx=0 buffer=5 iui=0


/* local read inc a */

s_mov_b32 s10, 0x400                               // inc
_v_add_co_u32 v[vgprLocalReadAddrA], vcc, s10, v[vgprLocalReadAddrA] // lrA += 1024 (LSU*(MT+PAD)*bpe)


/* local read inc b */

s_mov_b32 s10, 0x8                                 // inc
_v_add_co_u32 v[vgprLocalReadAddrB], vcc, s10, v[vgprLocalReadAddrB] // lrB += 8 (LSU*bpe)

s_waitcnt lgkmcnt(0)                               // lgkmcnt=0 vmcnt=-14wait for local read

v_or_b32 v[vgprValuA_X5_I0+0], v[vgprValuA_X5_I0+0], v79 // pack two half Vgpr to one Vgpr
v_or_b32 v[vgprValuA_X5_I0+1], v[vgprValuA_X5_I0+1], v80 // pack two half Vgpr to one Vgpr


/* tail loop mfma iter 5: numReadsIterCoalescedA=1, numReadsIterCoalescedB=1 */
v_and_b32 v79, 63, v[vgprSerial]                   // v79 = v[vgprSerial] % 64
v_lshrrev_b32 v79, 5, v79                          // v79 = v79 / 32
v_lshlrev_b32 v79, 0x1, v79                        // v79 = v79 * 2
v_cmp_ge_i32 s[60:61], v79, s[sgprLoopCounterL]    // check K index >= Size L
v_cndmask_b32 v[vgprValuB_X5_I0+0+0+0+0], v[vgprValuB_X5_I0+0+0+0+0], 0x0, s[60:61] // set 0 if K_idx >= sizeL
_v_sub_u32 v79, s[sgprLoopCounterL], v79           // get distance between size and k index
v_cmp_lt_i32 s[60:61], v79, 2                      // set partial 0 if distance less than input per thread
s_and_b32 s62, s[sgprLoopCounterL], 1              // get inputs for edge thread
s_sub_u32 s62, 2, s62                              // use shift to fill 0 for outside element
s_lshl_b32 s62, s62, 4                             // use shift to fill 0 for outside element
v_mov_b32 v80, -1                                  // set 0xffffffff
v_lshrrev_b32 v80, s62, v80                        // rshift mask for partial k
v_cndmask_b32 v80, -1, v80, s[60:61]               // select shifted mask for partial k
v_and_b32 v[vgprValuB_X5_I0+0+0+0+0], v[vgprValuB_X5_I0+0+0+0+0], v80 // 
s_nop 1
v_mfma_f32_32x32x4bf16 a[0+0:15+0], v[vgprValuA_X5_I0+0+0+0], v[vgprValuB_X5_I0+0+0+0], a[0:15]
v_mfma_f32_32x32x4bf16 a[16+0:31+0], v[vgprValuA_X5_I0+1+0+0], v[vgprValuB_X5_I0+0+0+0], a[16:31]


/* closeLoop loopL finalLoop=0 tailLoop=1 */
s_sub_i32 s[sgprLoopCounterL], s[sgprLoopCounterL], 0x4 // dec counterL (tailLoop)
s_add_u32 s[sgprOrigLoopCounter], s[sgprOrigLoopCounter], 0x4 // inc counterL
s_cmp_le_i32 s[sgprLoopCounterL], 0x0              // counterL<=0
s_cbranch_scc1 TailLoopEndL_7                      // exit LoopL


/* tail loop unroll iter 6 */


/* local read a */

_ds_load_u16 v[vgprValuA_X6_I0+0], v[vgprLocalReadAddrA] offset:0 // L -> Reg lro=0 swapByteOffset=0 ti=64 vIdx=0 rIdx=0 oIdx=0 buffer=6 iui=0
_ds_load_u16_d16_hi v79, v[vgprLocalReadAddrA] offset:256 // L -> Reg lro=0 swapByteOffset=0 ti=64 vIdx=0 rIdx=1 oIdx=0 buffer=6 iui=0
_ds_load_u16 v[vgprValuA_X6_I0+1], v[vgprLocalReadAddrA] offset:128 // L -> Reg lro=0 swapByteOffset=0 ti=64 vIdx=1 rIdx=0 oIdx=0 buffer=6 iui=0
_ds_load_u16_d16_hi v80, v[vgprLocalReadAddrA] offset:384 // L -> Reg lro=0 swapByteOffset=0 ti=64 vIdx=1 rIdx=1 oIdx=0 buffer=6 iui=0


/* local read b */

_ds_load_b32 v[vgprValuB_X6_I0+0], v[vgprLocalReadAddrB] offset:0 // L -> Reg lro=0 swapByteOffset=0 ti=64 vIdx=0 rIdx=0 oIdx=0 buffer=6 iui=0


/* local read inc a */

s_mov_b32 s10, 0x400                               // inc
_v_add_co_u32 v[vgprLocalReadAddrA], vcc, s10, v[vgprLocalReadAddrA] // lrA += 1024 (LSU*(MT+PAD)*bpe)


/* local read inc b */

s_mov_b32 s10, 0x8                                 // inc
_v_add_co_u32 v[vgprLocalReadAddrB], vcc, s10, v[vgprLocalReadAddrB] // lrB += 8 (LSU*bpe)

s_waitcnt lgkmcnt(0)                               // lgkmcnt=0 vmcnt=-14wait for local read

v_or_b32 v[vgprValuA_X6_I0+0], v[vgprValuA_X6_I0+0], v79 // pack two half Vgpr to one Vgpr
v_or_b32 v[vgprValuA_X6_I0+1], v[vgprValuA_X6_I0+1], v80 // pack two half Vgpr to one Vgpr


/* tail loop mfma iter 6: numReadsIterCoalescedA=1, numReadsIterCoalescedB=1 */
v_and_b32 v79, 63, v[vgprSerial]                   // v79 = v[vgprSerial] % 64
v_lshrrev_b32 v79, 5, v79                          // v79 = v79 / 32
v_lshlrev_b32 v79, 0x1, v79                        // v79 = v79 * 2
v_cmp_ge_i32 s[60:61], v79, s[sgprLoopCounterL]    // check K index >= Size L
v_cndmask_b32 v[vgprValuB_X6_I0+0+0+0+0], v[vgprValuB_X6_I0+0+0+0+0], 0x0, s[60:61] // set 0 if K_idx >= sizeL
_v_sub_u32 v79, s[sgprLoopCounterL], v79           // get distance between size and k index
v_cmp_lt_i32 s[60:61], v79, 2                      // set partial 0 if distance less than input per thread
s_and_b32 s62, s[sgprLoopCounterL], 1              // get inputs for edge thread
s_sub_u32 s62, 2, s62                              // use shift to fill 0 for outside element
s_lshl_b32 s62, s62, 4                             // use shift to fill 0 for outside element
v_mov_b32 v80, -1                                  // set 0xffffffff
v_lshrrev_b32 v80, s62, v80                        // rshift mask for partial k
v_cndmask_b32 v80, -1, v80, s[60:61]               // select shifted mask for partial k
v_and_b32 v[vgprValuB_X6_I0+0+0+0+0], v[vgprValuB_X6_I0+0+0+0+0], v80 // 
s_nop 1
v_mfma_f32_32x32x4bf16 a[0+0:15+0], v[vgprValuA_X6_I0+0+0+0], v[vgprValuB_X6_I0+0+0+0], a[0:15]
v_mfma_f32_32x32x4bf16 a[16+0:31+0], v[vgprValuA_X6_I0+1+0+0], v[vgprValuB_X6_I0+0+0+0], a[16:31]


/* closeLoop loopL finalLoop=0 tailLoop=1 */
s_sub_i32 s[sgprLoopCounterL], s[sgprLoopCounterL], 0x4 // dec counterL (tailLoop)
s_add_u32 s[sgprOrigLoopCounter], s[sgprOrigLoopCounter], 0x4 // inc counterL
s_cmp_le_i32 s[sgprLoopCounterL], 0x0              // counterL<=0
s_cbranch_scc1 TailLoopEndL_7                      // exit LoopL


/* tail loop unroll iter 7 */


/* local read a */

_ds_load_u16 v[vgprValuA_X7_I0+0], v[vgprLocalReadAddrA] offset:0 // L -> Reg lro=0 swapByteOffset=0 ti=64 vIdx=0 rIdx=0 oIdx=0 buffer=7 iui=0
_ds_load_u16_d16_hi v79, v[vgprLocalReadAddrA] offset:256 // L -> Reg lro=0 swapByteOffset=0 ti=64 vIdx=0 rIdx=1 oIdx=0 buffer=7 iui=0
_ds_load_u16 v[vgprValuA_X7_I0+1], v[vgprLocalReadAddrA] offset:128 // L -> Reg lro=0 swapByteOffset=0 ti=64 vIdx=1 rIdx=0 oIdx=0 buffer=7 iui=0
_ds_load_u16_d16_hi v80, v[vgprLocalReadAddrA] offset:384 // L -> Reg lro=0 swapByteOffset=0 ti=64 vIdx=1 rIdx=1 oIdx=0 buffer=7 iui=0


/* local read b */

_ds_load_b32 v[vgprValuB_X7_I0+0], v[vgprLocalReadAddrB] offset:0 // L -> Reg lro=0 swapByteOffset=0 ti=64 vIdx=0 rIdx=0 oIdx=0 buffer=7 iui=0


/* local read inc a */

s_mov_b32 s10, 0x400                               // inc
_v_add_co_u32 v[vgprLocalReadAddrA], vcc, s10, v[vgprLocalReadAddrA] // lrA += 1024 (LSU*(MT+PAD)*bpe)


/* local read inc b */

s_mov_b32 s10, 0x8                                 // inc
_v_add_co_u32 v[vgprLocalReadAddrB], vcc, s10, v[vgprLocalReadAddrB] // lrB += 8 (LSU*bpe)

s_waitcnt lgkmcnt(0)                               // lgkmcnt=0 vmcnt=-14wait for local read

v_or_b32 v[vgprValuA_X7_I0+0], v[vgprValuA_X7_I0+0], v79 // pack two half Vgpr to one Vgpr
v_or_b32 v[vgprValuA_X7_I0+1], v[vgprValuA_X7_I0+1], v80 // pack two half Vgpr to one Vgpr


/* tail loop mfma iter 7: numReadsIterCoalescedA=1, numReadsIterCoalescedB=1 */
v_and_b32 v79, 63, v[vgprSerial]                   // v79 = v[vgprSerial] % 64
v_lshrrev_b32 v79, 5, v79                          // v79 = v79 / 32
v_lshlrev_b32 v79, 0x1, v79                        // v79 = v79 * 2
v_cmp_ge_i32 s[60:61], v79, s[sgprLoopCounterL]    // check K index >= Size L
v_cndmask_b32 v[vgprValuB_X7_I0+0+0+0+0], v[vgprValuB_X7_I0+0+0+0+0], 0x0, s[60:61] // set 0 if K_idx >= sizeL
_v_sub_u32 v79, s[sgprLoopCounterL], v79           // get distance between size and k index
v_cmp_lt_i32 s[60:61], v79, 2                      // set partial 0 if distance less than input per thread
s_and_b32 s62, s[sgprLoopCounterL], 1              // get inputs for edge thread
s_sub_u32 s62, 2, s62                              // use shift to fill 0 for outside element
s_lshl_b32 s62, s62, 4                             // use shift to fill 0 for outside element
v_mov_b32 v80, -1                                  // set 0xffffffff
v_lshrrev_b32 v80, s62, v80                        // rshift mask for partial k
v_cndmask_b32 v80, -1, v80, s[60:61]               // select shifted mask for partial k
v_and_b32 v[vgprValuB_X7_I0+0+0+0+0], v[vgprValuB_X7_I0+0+0+0+0], v80 // 
s_nop 1
v_mfma_f32_32x32x4bf16 a[0+0:15+0], v[vgprValuA_X7_I0+0+0+0], v[vgprValuB_X7_I0+0+0+0], a[0:15]
v_mfma_f32_32x32x4bf16 a[16+0:31+0], v[vgprValuA_X7_I0+1+0+0], v[vgprValuB_X7_I0+0+0+0], a[16:31]


/* closeLoop loopL finalLoop=0 tailLoop=1 */
s_sub_i32 s[sgprLoopCounterL], s[sgprLoopCounterL], 0x4 // dec counterL (tailLoop)
s_add_u32 s[sgprOrigLoopCounter], s[sgprOrigLoopCounter], 0x4 // inc counterL
s_cmp_le_i32 s[sgprLoopCounterL], 0x0              // counterL<=0
s_cbranch_scc1 TailLoopEndL_7                      // exit LoopL


/* tail loop unroll iter 8 */


/* local read a */

_ds_load_u16 v[vgprValuA_X8_I0+0], v[vgprLocalReadAddrA] offset:0 // L -> Reg lro=0 swapByteOffset=0 ti=64 vIdx=0 rIdx=0 oIdx=0 buffer=8 iui=0
_ds_load_u16_d16_hi v79, v[vgprLocalReadAddrA] offset:256 // L -> Reg lro=0 swapByteOffset=0 ti=64 vIdx=0 rIdx=1 oIdx=0 buffer=8 iui=0
_ds_load_u16 v[vgprValuA_X8_I0+1], v[vgprLocalReadAddrA] offset:128 // L -> Reg lro=0 swapByteOffset=0 ti=64 vIdx=1 rIdx=0 oIdx=0 buffer=8 iui=0
_ds_load_u16_d16_hi v80, v[vgprLocalReadAddrA] offset:384 // L -> Reg lro=0 swapByteOffset=0 ti=64 vIdx=1 rIdx=1 oIdx=0 buffer=8 iui=0


/* local read b */

_ds_load_b32 v[vgprValuB_X8_I0+0], v[vgprLocalReadAddrB] offset:0 // L -> Reg lro=0 swapByteOffset=0 ti=64 vIdx=0 rIdx=0 oIdx=0 buffer=8 iui=0


/* local read inc a */

s_mov_b32 s10, 0x400                               // inc
_v_add_co_u32 v[vgprLocalReadAddrA], vcc, s10, v[vgprLocalReadAddrA] // lrA += 1024 (LSU*(MT+PAD)*bpe)


/* local read inc b */

s_mov_b32 s10, 0x8                                 // inc
_v_add_co_u32 v[vgprLocalReadAddrB], vcc, s10, v[vgprLocalReadAddrB] // lrB += 8 (LSU*bpe)

s_waitcnt lgkmcnt(0)                               // lgkmcnt=0 vmcnt=-14wait for local read

v_or_b32 v[vgprValuA_X8_I0+0], v[vgprValuA_X8_I0+0], v79 // pack two half Vgpr to one Vgpr
v_or_b32 v[vgprValuA_X8_I0+1], v[vgprValuA_X8_I0+1], v80 // pack two half Vgpr to one Vgpr


/* tail loop mfma iter 8: numReadsIterCoalescedA=1, numReadsIterCoalescedB=1 */
v_and_b32 v79, 63, v[vgprSerial]                   // v79 = v[vgprSerial] % 64
v_lshrrev_b32 v79, 5, v79                          // v79 = v79 / 32
v_lshlrev_b32 v79, 0x1, v79                        // v79 = v79 * 2
v_cmp_ge_i32 s[60:61], v79, s[sgprLoopCounterL]    // check K index >= Size L
v_cndmask_b32 v[vgprValuB_X8_I0+0+0+0+0], v[vgprValuB_X8_I0+0+0+0+0], 0x0, s[60:61] // set 0 if K_idx >= sizeL
_v_sub_u32 v79, s[sgprLoopCounterL], v79           // get distance between size and k index
v_cmp_lt_i32 s[60:61], v79, 2                      // set partial 0 if distance less than input per thread
s_and_b32 s62, s[sgprLoopCounterL], 1              // get inputs for edge thread
s_sub_u32 s62, 2, s62                              // use shift to fill 0 for outside element
s_lshl_b32 s62, s62, 4                             // use shift to fill 0 for outside element
v_mov_b32 v80, -1                                  // set 0xffffffff
v_lshrrev_b32 v80, s62, v80                        // rshift mask for partial k
v_cndmask_b32 v80, -1, v80, s[60:61]               // select shifted mask for partial k
v_and_b32 v[vgprValuB_X8_I0+0+0+0+0], v[vgprValuB_X8_I0+0+0+0+0], v80 // 
s_nop 1
v_mfma_f32_32x32x4bf16 a[0+0:15+0], v[vgprValuA_X8_I0+0+0+0], v[vgprValuB_X8_I0+0+0+0], a[0:15]
v_mfma_f32_32x32x4bf16 a[16+0:31+0], v[vgprValuA_X8_I0+1+0+0], v[vgprValuB_X8_I0+0+0+0], a[16:31]


/* closeLoop loopL finalLoop=0 tailLoop=1 */
s_sub_i32 s[sgprLoopCounterL], s[sgprLoopCounterL], 0x4 // dec counterL (tailLoop)
s_add_u32 s[sgprOrigLoopCounter], s[sgprOrigLoopCounter], 0x4 // inc counterL
s_cmp_le_i32 s[sgprLoopCounterL], 0x0              // counterL<=0
s_cbranch_scc1 TailLoopEndL_7                      // exit LoopL


/* tail loop unroll iter 9 */


/* local read a */

_ds_load_u16 v[vgprValuA_X9_I0+0], v[vgprLocalReadAddrA] offset:0 // L -> Reg lro=0 swapByteOffset=0 ti=64 vIdx=0 rIdx=0 oIdx=0 buffer=9 iui=0
_ds_load_u16_d16_hi v79, v[vgprLocalReadAddrA] offset:256 // L -> Reg lro=0 swapByteOffset=0 ti=64 vIdx=0 rIdx=1 oIdx=0 buffer=9 iui=0
_ds_load_u16 v[vgprValuA_X9_I0+1], v[vgprLocalReadAddrA] offset:128 // L -> Reg lro=0 swapByteOffset=0 ti=64 vIdx=1 rIdx=0 oIdx=0 buffer=9 iui=0
_ds_load_u16_d16_hi v80, v[vgprLocalReadAddrA] offset:384 // L -> Reg lro=0 swapByteOffset=0 ti=64 vIdx=1 rIdx=1 oIdx=0 buffer=9 iui=0


/* local read b */

_ds_load_b32 v[vgprValuB_X9_I0+0], v[vgprLocalReadAddrB] offset:0 // L -> Reg lro=0 swapByteOffset=0 ti=64 vIdx=0 rIdx=0 oIdx=0 buffer=9 iui=0


/* local read inc a */

s_mov_b32 s10, 0x400                               // inc
_v_add_co_u32 v[vgprLocalReadAddrA], vcc, s10, v[vgprLocalReadAddrA] // lrA += 1024 (LSU*(MT+PAD)*bpe)


/* local read inc b */

s_mov_b32 s10, 0x8                                 // inc
_v_add_co_u32 v[vgprLocalReadAddrB], vcc, s10, v[vgprLocalReadAddrB] // lrB += 8 (LSU*bpe)

s_waitcnt lgkmcnt(0)                               // lgkmcnt=0 vmcnt=-14wait for local read

v_or_b32 v[vgprValuA_X9_I0+0], v[vgprValuA_X9_I0+0], v79 // pack two half Vgpr to one Vgpr
v_or_b32 v[vgprValuA_X9_I0+1], v[vgprValuA_X9_I0+1], v80 // pack two half Vgpr to one Vgpr


/* tail loop mfma iter 9: numReadsIterCoalescedA=1, numReadsIterCoalescedB=1 */
v_and_b32 v79, 63, v[vgprSerial]                   // v79 = v[vgprSerial] % 64
v_lshrrev_b32 v79, 5, v79                          // v79 = v79 / 32
v_lshlrev_b32 v79, 0x1, v79                        // v79 = v79 * 2
v_cmp_ge_i32 s[60:61], v79, s[sgprLoopCounterL]    // check K index >= Size L
v_cndmask_b32 v[vgprValuB_X9_I0+0+0+0+0], v[vgprValuB_X9_I0+0+0+0+0], 0x0, s[60:61] // set 0 if K_idx >= sizeL
_v_sub_u32 v79, s[sgprLoopCounterL], v79           // get distance between size and k index
v_cmp_lt_i32 s[60:61], v79, 2                      // set partial 0 if distance less than input per thread
s_and_b32 s62, s[sgprLoopCounterL], 1              // get inputs for edge thread
s_sub_u32 s62, 2, s62                              // use shift to fill 0 for outside element
s_lshl_b32 s62, s62, 4                             // use shift to fill 0 for outside element
v_mov_b32 v80, -1                                  // set 0xffffffff
v_lshrrev_b32 v80, s62, v80                        // rshift mask for partial k
v_cndmask_b32 v80, -1, v80, s[60:61]               // select shifted mask for partial k
v_and_b32 v[vgprValuB_X9_I0+0+0+0+0], v[vgprValuB_X9_I0+0+0+0+0], v80 // 
s_nop 1
v_mfma_f32_32x32x4bf16 a[0+0:15+0], v[vgprValuA_X9_I0+0+0+0], v[vgprValuB_X9_I0+0+0+0], a[0:15]
v_mfma_f32_32x32x4bf16 a[16+0:31+0], v[vgprValuA_X9_I0+1+0+0], v[vgprValuB_X9_I0+0+0+0], a[16:31]


/* closeLoop loopL finalLoop=0 tailLoop=1 */
s_sub_i32 s[sgprLoopCounterL], s[sgprLoopCounterL], 0x4 // dec counterL (tailLoop)
s_add_u32 s[sgprOrigLoopCounter], s[sgprOrigLoopCounter], 0x4 // inc counterL
s_cmp_le_i32 s[sgprLoopCounterL], 0x0              // counterL<=0
s_cbranch_scc1 TailLoopEndL_7                      // exit LoopL


/* tail loop unroll iter 10 */


/* local read a */

_ds_load_u16 v[vgprValuA_X10_I0+0], v[vgprLocalReadAddrA] offset:0 // L -> Reg lro=0 swapByteOffset=0 ti=64 vIdx=0 rIdx=0 oIdx=0 buffer=10 iui=0
_ds_load_u16_d16_hi v79, v[vgprLocalReadAddrA] offset:256 // L -> Reg lro=0 swapByteOffset=0 ti=64 vIdx=0 rIdx=1 oIdx=0 buffer=10 iui=0
_ds_load_u16 v[vgprValuA_X10_I0+1], v[vgprLocalReadAddrA] offset:128 // L -> Reg lro=0 swapByteOffset=0 ti=64 vIdx=1 rIdx=0 oIdx=0 buffer=10 iui=0
_ds_load_u16_d16_hi v80, v[vgprLocalReadAddrA] offset:384 // L -> Reg lro=0 swapByteOffset=0 ti=64 vIdx=1 rIdx=1 oIdx=0 buffer=10 iui=0


/* local read b */

_ds_load_b32 v[vgprValuB_X10_I0+0], v[vgprLocalReadAddrB] offset:0 // L -> Reg lro=0 swapByteOffset=0 ti=64 vIdx=0 rIdx=0 oIdx=0 buffer=10 iui=0


/* local read inc a */

s_mov_b32 s10, 0x400                               // inc
_v_add_co_u32 v[vgprLocalReadAddrA], vcc, s10, v[vgprLocalReadAddrA] // lrA += 1024 (LSU*(MT+PAD)*bpe)


/* local read inc b */

s_mov_b32 s10, 0x8                                 // inc
_v_add_co_u32 v[vgprLocalReadAddrB], vcc, s10, v[vgprLocalReadAddrB] // lrB += 8 (LSU*bpe)

s_waitcnt lgkmcnt(0)                               // lgkmcnt=0 vmcnt=-14wait for local read

v_or_b32 v[vgprValuA_X10_I0+0], v[vgprValuA_X10_I0+0], v79 // pack two half Vgpr to one Vgpr
v_or_b32 v[vgprValuA_X10_I0+1], v[vgprValuA_X10_I0+1], v80 // pack two half Vgpr to one Vgpr


/* tail loop mfma iter 10: numReadsIterCoalescedA=1, numReadsIterCoalescedB=1 */
v_and_b32 v79, 63, v[vgprSerial]                   // v79 = v[vgprSerial] % 64
v_lshrrev_b32 v79, 5, v79                          // v79 = v79 / 32
v_lshlrev_b32 v79, 0x1, v79                        // v79 = v79 * 2
v_cmp_ge_i32 s[60:61], v79, s[sgprLoopCounterL]    // check K index >= Size L
v_cndmask_b32 v[vgprValuB_X10_I0+0+0+0+0], v[vgprValuB_X10_I0+0+0+0+0], 0x0, s[60:61] // set 0 if K_idx >= sizeL
_v_sub_u32 v79, s[sgprLoopCounterL], v79           // get distance between size and k index
v_cmp_lt_i32 s[60:61], v79, 2                      // set partial 0 if distance less than input per thread
s_and_b32 s62, s[sgprLoopCounterL], 1              // get inputs for edge thread
s_sub_u32 s62, 2, s62                              // use shift to fill 0 for outside element
s_lshl_b32 s62, s62, 4                             // use shift to fill 0 for outside element
v_mov_b32 v80, -1                                  // set 0xffffffff
v_lshrrev_b32 v80, s62, v80                        // rshift mask for partial k
v_cndmask_b32 v80, -1, v80, s[60:61]               // select shifted mask for partial k
v_and_b32 v[vgprValuB_X10_I0+0+0+0+0], v[vgprValuB_X10_I0+0+0+0+0], v80 // 
s_nop 1
v_mfma_f32_32x32x4bf16 a[0+0:15+0], v[vgprValuA_X10_I0+0+0+0], v[vgprValuB_X10_I0+0+0+0], a[0:15]
v_mfma_f32_32x32x4bf16 a[16+0:31+0], v[vgprValuA_X10_I0+1+0+0], v[vgprValuB_X10_I0+0+0+0], a[16:31]


/* closeLoop loopL finalLoop=0 tailLoop=1 */
s_sub_i32 s[sgprLoopCounterL], s[sgprLoopCounterL], 0x4 // dec counterL (tailLoop)
s_add_u32 s[sgprOrigLoopCounter], s[sgprOrigLoopCounter], 0x4 // inc counterL
s_cmp_le_i32 s[sgprLoopCounterL], 0x0              // counterL<=0
s_cbranch_scc1 TailLoopEndL_7                      // exit LoopL


/* tail loop unroll iter 11 */


/* local read a */

_ds_load_u16 v[vgprValuA_X11_I0+0], v[vgprLocalReadAddrA] offset:0 // L -> Reg lro=0 swapByteOffset=0 ti=64 vIdx=0 rIdx=0 oIdx=0 buffer=11 iui=0
_ds_load_u16_d16_hi v79, v[vgprLocalReadAddrA] offset:256 // L -> Reg lro=0 swapByteOffset=0 ti=64 vIdx=0 rIdx=1 oIdx=0 buffer=11 iui=0
_ds_load_u16 v[vgprValuA_X11_I0+1], v[vgprLocalReadAddrA] offset:128 // L -> Reg lro=0 swapByteOffset=0 ti=64 vIdx=1 rIdx=0 oIdx=0 buffer=11 iui=0
_ds_load_u16_d16_hi v80, v[vgprLocalReadAddrA] offset:384 // L -> Reg lro=0 swapByteOffset=0 ti=64 vIdx=1 rIdx=1 oIdx=0 buffer=11 iui=0


/* local read b */

_ds_load_b32 v[vgprValuB_X11_I0+0], v[vgprLocalReadAddrB] offset:0 // L -> Reg lro=0 swapByteOffset=0 ti=64 vIdx=0 rIdx=0 oIdx=0 buffer=11 iui=0


/* local read inc a */

s_mov_b32 s10, 0x400                               // inc
_v_add_co_u32 v[vgprLocalReadAddrA], vcc, s10, v[vgprLocalReadAddrA] // lrA += 1024 (LSU*(MT+PAD)*bpe)


/* local read inc b */

s_mov_b32 s10, 0x8                                 // inc
_v_add_co_u32 v[vgprLocalReadAddrB], vcc, s10, v[vgprLocalReadAddrB] // lrB += 8 (LSU*bpe)

s_waitcnt lgkmcnt(0)                               // lgkmcnt=0 vmcnt=-14wait for local read

v_or_b32 v[vgprValuA_X11_I0+0], v[vgprValuA_X11_I0+0], v79 // pack two half Vgpr to one Vgpr
v_or_b32 v[vgprValuA_X11_I0+1], v[vgprValuA_X11_I0+1], v80 // pack two half Vgpr to one Vgpr


/* tail loop mfma iter 11: numReadsIterCoalescedA=1, numReadsIterCoalescedB=1 */
v_and_b32 v79, 63, v[vgprSerial]                   // v79 = v[vgprSerial] % 64
v_lshrrev_b32 v79, 5, v79                          // v79 = v79 / 32
v_lshlrev_b32 v79, 0x1, v79                        // v79 = v79 * 2
v_cmp_ge_i32 s[60:61], v79, s[sgprLoopCounterL]    // check K index >= Size L
v_cndmask_b32 v[vgprValuB_X11_I0+0+0+0+0], v[vgprValuB_X11_I0+0+0+0+0], 0x0, s[60:61] // set 0 if K_idx >= sizeL
_v_sub_u32 v79, s[sgprLoopCounterL], v79           // get distance between size and k index
v_cmp_lt_i32 s[60:61], v79, 2                      // set partial 0 if distance less than input per thread
s_and_b32 s62, s[sgprLoopCounterL], 1              // get inputs for edge thread
s_sub_u32 s62, 2, s62                              // use shift to fill 0 for outside element
s_lshl_b32 s62, s62, 4                             // use shift to fill 0 for outside element
v_mov_b32 v80, -1                                  // set 0xffffffff
v_lshrrev_b32 v80, s62, v80                        // rshift mask for partial k
v_cndmask_b32 v80, -1, v80, s[60:61]               // select shifted mask for partial k
v_and_b32 v[vgprValuB_X11_I0+0+0+0+0], v[vgprValuB_X11_I0+0+0+0+0], v80 // 
s_nop 1
v_mfma_f32_32x32x4bf16 a[0+0:15+0], v[vgprValuA_X11_I0+0+0+0], v[vgprValuB_X11_I0+0+0+0], a[0:15]
v_mfma_f32_32x32x4bf16 a[16+0:31+0], v[vgprValuA_X11_I0+1+0+0], v[vgprValuB_X11_I0+0+0+0], a[16:31]


/* closeLoop loopL finalLoop=0 tailLoop=1 */
s_sub_i32 s[sgprLoopCounterL], s[sgprLoopCounterL], 0x4 // dec counterL (tailLoop)
s_add_u32 s[sgprOrigLoopCounter], s[sgprOrigLoopCounter], 0x4 // inc counterL
s_cmp_le_i32 s[sgprLoopCounterL], 0x0              // counterL<=0
s_cbranch_scc1 TailLoopEndL_7                      // exit LoopL


/* tail loop unroll iter 12 */


/* local read a */

_ds_load_u16 v[vgprValuA_X12_I0+0], v[vgprLocalReadAddrA] offset:0 // L -> Reg lro=0 swapByteOffset=0 ti=64 vIdx=0 rIdx=0 oIdx=0 buffer=12 iui=0
_ds_load_u16_d16_hi v79, v[vgprLocalReadAddrA] offset:256 // L -> Reg lro=0 swapByteOffset=0 ti=64 vIdx=0 rIdx=1 oIdx=0 buffer=12 iui=0
_ds_load_u16 v[vgprValuA_X12_I0+1], v[vgprLocalReadAddrA] offset:128 // L -> Reg lro=0 swapByteOffset=0 ti=64 vIdx=1 rIdx=0 oIdx=0 buffer=12 iui=0
_ds_load_u16_d16_hi v80, v[vgprLocalReadAddrA] offset:384 // L -> Reg lro=0 swapByteOffset=0 ti=64 vIdx=1 rIdx=1 oIdx=0 buffer=12 iui=0


/* local read b */

_ds_load_b32 v[vgprValuB_X12_I0+0], v[vgprLocalReadAddrB] offset:0 // L -> Reg lro=0 swapByteOffset=0 ti=64 vIdx=0 rIdx=0 oIdx=0 buffer=12 iui=0


/* local read inc a */

s_mov_b32 s10, 0x400                               // inc
_v_add_co_u32 v[vgprLocalReadAddrA], vcc, s10, v[vgprLocalReadAddrA] // lrA += 1024 (LSU*(MT+PAD)*bpe)


/* local read inc b */

s_mov_b32 s10, 0x8                                 // inc
_v_add_co_u32 v[vgprLocalReadAddrB], vcc, s10, v[vgprLocalReadAddrB] // lrB += 8 (LSU*bpe)

s_waitcnt lgkmcnt(0)                               // lgkmcnt=0 vmcnt=-14wait for local read

v_or_b32 v[vgprValuA_X12_I0+0], v[vgprValuA_X12_I0+0], v79 // pack two half Vgpr to one Vgpr
v_or_b32 v[vgprValuA_X12_I0+1], v[vgprValuA_X12_I0+1], v80 // pack two half Vgpr to one Vgpr


/* tail loop mfma iter 12: numReadsIterCoalescedA=1, numReadsIterCoalescedB=1 */
v_and_b32 v79, 63, v[vgprSerial]                   // v79 = v[vgprSerial] % 64
v_lshrrev_b32 v79, 5, v79                          // v79 = v79 / 32
v_lshlrev_b32 v79, 0x1, v79                        // v79 = v79 * 2
v_cmp_ge_i32 s[60:61], v79, s[sgprLoopCounterL]    // check K index >= Size L
v_cndmask_b32 v[vgprValuB_X12_I0+0+0+0+0], v[vgprValuB_X12_I0+0+0+0+0], 0x0, s[60:61] // set 0 if K_idx >= sizeL
_v_sub_u32 v79, s[sgprLoopCounterL], v79           // get distance between size and k index
v_cmp_lt_i32 s[60:61], v79, 2                      // set partial 0 if distance less than input per thread
s_and_b32 s62, s[sgprLoopCounterL], 1              // get inputs for edge thread
s_sub_u32 s62, 2, s62                              // use shift to fill 0 for outside element
s_lshl_b32 s62, s62, 4                             // use shift to fill 0 for outside element
v_mov_b32 v80, -1                                  // set 0xffffffff
v_lshrrev_b32 v80, s62, v80                        // rshift mask for partial k
v_cndmask_b32 v80, -1, v80, s[60:61]               // select shifted mask for partial k
v_and_b32 v[vgprValuB_X12_I0+0+0+0+0], v[vgprValuB_X12_I0+0+0+0+0], v80 // 
s_nop 1
v_mfma_f32_32x32x4bf16 a[0+0:15+0], v[vgprValuA_X12_I0+0+0+0], v[vgprValuB_X12_I0+0+0+0], a[0:15]
v_mfma_f32_32x32x4bf16 a[16+0:31+0], v[vgprValuA_X12_I0+1+0+0], v[vgprValuB_X12_I0+0+0+0], a[16:31]


/* closeLoop loopL finalLoop=0 tailLoop=1 */
s_sub_i32 s[sgprLoopCounterL], s[sgprLoopCounterL], 0x4 // dec counterL (tailLoop)
s_add_u32 s[sgprOrigLoopCounter], s[sgprOrigLoopCounter], 0x4 // inc counterL
s_cmp_le_i32 s[sgprLoopCounterL], 0x0              // counterL<=0
s_cbranch_scc1 TailLoopEndL_7                      // exit LoopL


/* tail loop unroll iter 13 */


/* local read a */

_ds_load_u16 v[vgprValuA_X13_I0+0], v[vgprLocalReadAddrA] offset:0 // L -> Reg lro=0 swapByteOffset=0 ti=64 vIdx=0 rIdx=0 oIdx=0 buffer=13 iui=0
_ds_load_u16_d16_hi v79, v[vgprLocalReadAddrA] offset:256 // L -> Reg lro=0 swapByteOffset=0 ti=64 vIdx=0 rIdx=1 oIdx=0 buffer=13 iui=0
_ds_load_u16 v[vgprValuA_X13_I0+1], v[vgprLocalReadAddrA] offset:128 // L -> Reg lro=0 swapByteOffset=0 ti=64 vIdx=1 rIdx=0 oIdx=0 buffer=13 iui=0
_ds_load_u16_d16_hi v80, v[vgprLocalReadAddrA] offset:384 // L -> Reg lro=0 swapByteOffset=0 ti=64 vIdx=1 rIdx=1 oIdx=0 buffer=13 iui=0


/* local read b */

_ds_load_b32 v[vgprValuB_X13_I0+0], v[vgprLocalReadAddrB] offset:0 // L -> Reg lro=0 swapByteOffset=0 ti=64 vIdx=0 rIdx=0 oIdx=0 buffer=13 iui=0


/* local read inc a */

s_mov_b32 s10, 0x400                               // inc
_v_add_co_u32 v[vgprLocalReadAddrA], vcc, s10, v[vgprLocalReadAddrA] // lrA += 1024 (LSU*(MT+PAD)*bpe)


/* local read inc b */

s_mov_b32 s10, 0x8                                 // inc
_v_add_co_u32 v[vgprLocalReadAddrB], vcc, s10, v[vgprLocalReadAddrB] // lrB += 8 (LSU*bpe)

s_waitcnt lgkmcnt(0)                               // lgkmcnt=0 vmcnt=-14wait for local read

v_or_b32 v[vgprValuA_X13_I0+0], v[vgprValuA_X13_I0+0], v79 // pack two half Vgpr to one Vgpr
v_or_b32 v[vgprValuA_X13_I0+1], v[vgprValuA_X13_I0+1], v80 // pack two half Vgpr to one Vgpr


/* tail loop mfma iter 13: numReadsIterCoalescedA=1, numReadsIterCoalescedB=1 */
v_and_b32 v79, 63, v[vgprSerial]                   // v79 = v[vgprSerial] % 64
v_lshrrev_b32 v79, 5, v79                          // v79 = v79 / 32
v_lshlrev_b32 v79, 0x1, v79                        // v79 = v79 * 2
v_cmp_ge_i32 s[60:61], v79, s[sgprLoopCounterL]    // check K index >= Size L
v_cndmask_b32 v[vgprValuB_X13_I0+0+0+0+0], v[vgprValuB_X13_I0+0+0+0+0], 0x0, s[60:61] // set 0 if K_idx >= sizeL
_v_sub_u32 v79, s[sgprLoopCounterL], v79           // get distance between size and k index
v_cmp_lt_i32 s[60:61], v79, 2                      // set partial 0 if distance less than input per thread
s_and_b32 s62, s[sgprLoopCounterL], 1              // get inputs for edge thread
s_sub_u32 s62, 2, s62                              // use shift to fill 0 for outside element
s_lshl_b32 s62, s62, 4                             // use shift to fill 0 for outside element
v_mov_b32 v80, -1                                  // set 0xffffffff
v_lshrrev_b32 v80, s62, v80                        // rshift mask for partial k
v_cndmask_b32 v80, -1, v80, s[60:61]               // select shifted mask for partial k
v_and_b32 v[vgprValuB_X13_I0+0+0+0+0], v[vgprValuB_X13_I0+0+0+0+0], v80 // 
s_nop 1
v_mfma_f32_32x32x4bf16 a[0+0:15+0], v[vgprValuA_X13_I0+0+0+0], v[vgprValuB_X13_I0+0+0+0], a[0:15]
v_mfma_f32_32x32x4bf16 a[16+0:31+0], v[vgprValuA_X13_I0+1+0+0], v[vgprValuB_X13_I0+0+0+0], a[16:31]


/* closeLoop loopL finalLoop=0 tailLoop=1 */
s_sub_i32 s[sgprLoopCounterL], s[sgprLoopCounterL], 0x4 // dec counterL (tailLoop)
s_add_u32 s[sgprOrigLoopCounter], s[sgprOrigLoopCounter], 0x4 // inc counterL
s_cmp_le_i32 s[sgprLoopCounterL], 0x0              // counterL<=0
s_cbranch_scc1 TailLoopEndL_7                      // exit LoopL


/* tail loop unroll iter 14 */


/* local read a */

_ds_load_u16 v[vgprValuA_X14_I0+0], v[vgprLocalReadAddrA] offset:0 // L -> Reg lro=0 swapByteOffset=0 ti=64 vIdx=0 rIdx=0 oIdx=0 buffer=14 iui=0
_ds_load_u16_d16_hi v79, v[vgprLocalReadAddrA] offset:256 // L -> Reg lro=0 swapByteOffset=0 ti=64 vIdx=0 rIdx=1 oIdx=0 buffer=14 iui=0
_ds_load_u16 v[vgprValuA_X14_I0+1], v[vgprLocalReadAddrA] offset:128 // L -> Reg lro=0 swapByteOffset=0 ti=64 vIdx=1 rIdx=0 oIdx=0 buffer=14 iui=0
_ds_load_u16_d16_hi v80, v[vgprLocalReadAddrA] offset:384 // L -> Reg lro=0 swapByteOffset=0 ti=64 vIdx=1 rIdx=1 oIdx=0 buffer=14 iui=0


/* local read b */

_ds_load_b32 v[vgprValuB_X14_I0+0], v[vgprLocalReadAddrB] offset:0 // L -> Reg lro=0 swapByteOffset=0 ti=64 vIdx=0 rIdx=0 oIdx=0 buffer=14 iui=0


/* local read inc a */

s_mov_b32 s10, 0x400                               // inc
_v_add_co_u32 v[vgprLocalReadAddrA], vcc, s10, v[vgprLocalReadAddrA] // lrA += 1024 (LSU*(MT+PAD)*bpe)


/* local read inc b */

s_mov_b32 s10, 0x8                                 // inc
_v_add_co_u32 v[vgprLocalReadAddrB], vcc, s10, v[vgprLocalReadAddrB] // lrB += 8 (LSU*bpe)

s_waitcnt lgkmcnt(0)                               // lgkmcnt=0 vmcnt=-14wait for local read

v_or_b32 v[vgprValuA_X14_I0+0], v[vgprValuA_X14_I0+0], v79 // pack two half Vgpr to one Vgpr
v_or_b32 v[vgprValuA_X14_I0+1], v[vgprValuA_X14_I0+1], v80 // pack two half Vgpr to one Vgpr


/* tail loop mfma iter 14: numReadsIterCoalescedA=1, numReadsIterCoalescedB=1 */
v_and_b32 v79, 63, v[vgprSerial]                   // v79 = v[vgprSerial] % 64
v_lshrrev_b32 v79, 5, v79                          // v79 = v79 / 32
v_lshlrev_b32 v79, 0x1, v79                        // v79 = v79 * 2
v_cmp_ge_i32 s[60:61], v79, s[sgprLoopCounterL]    // check K index >= Size L
v_cndmask_b32 v[vgprValuB_X14_I0+0+0+0+0], v[vgprValuB_X14_I0+0+0+0+0], 0x0, s[60:61] // set 0 if K_idx >= sizeL
_v_sub_u32 v79, s[sgprLoopCounterL], v79           // get distance between size and k index
v_cmp_lt_i32 s[60:61], v79, 2                      // set partial 0 if distance less than input per thread
s_and_b32 s62, s[sgprLoopCounterL], 1              // get inputs for edge thread
s_sub_u32 s62, 2, s62                              // use shift to fill 0 for outside element
s_lshl_b32 s62, s62, 4                             // use shift to fill 0 for outside element
v_mov_b32 v80, -1                                  // set 0xffffffff
v_lshrrev_b32 v80, s62, v80                        // rshift mask for partial k
v_cndmask_b32 v80, -1, v80, s[60:61]               // select shifted mask for partial k
v_and_b32 v[vgprValuB_X14_I0+0+0+0+0], v[vgprValuB_X14_I0+0+0+0+0], v80 // 
s_nop 1
v_mfma_f32_32x32x4bf16 a[0+0:15+0], v[vgprValuA_X14_I0+0+0+0], v[vgprValuB_X14_I0+0+0+0], a[0:15]
v_mfma_f32_32x32x4bf16 a[16+0:31+0], v[vgprValuA_X14_I0+1+0+0], v[vgprValuB_X14_I0+0+0+0], a[16:31]


/* closeLoop loopL finalLoop=0 tailLoop=1 */
s_sub_i32 s[sgprLoopCounterL], s[sgprLoopCounterL], 0x4 // dec counterL (tailLoop)
s_add_u32 s[sgprOrigLoopCounter], s[sgprOrigLoopCounter], 0x4 // inc counterL
s_cmp_le_i32 s[sgprLoopCounterL], 0x0              // counterL<=0
s_cbranch_scc1 TailLoopEndL_7                      // exit LoopL


/* tail loop unroll iter 15 */


/* local read a */

_ds_load_u16 v[vgprValuA_X15_I0+0], v[vgprLocalReadAddrA] offset:0 // L -> Reg lro=0 swapByteOffset=0 ti=64 vIdx=0 rIdx=0 oIdx=0 buffer=15 iui=0
_ds_load_u16_d16_hi v79, v[vgprLocalReadAddrA] offset:256 // L -> Reg lro=0 swapByteOffset=0 ti=64 vIdx=0 rIdx=1 oIdx=0 buffer=15 iui=0
_ds_load_u16 v[vgprValuA_X15_I0+1], v[vgprLocalReadAddrA] offset:128 // L -> Reg lro=0 swapByteOffset=0 ti=64 vIdx=1 rIdx=0 oIdx=0 buffer=15 iui=0
_ds_load_u16_d16_hi v80, v[vgprLocalReadAddrA] offset:384 // L -> Reg lro=0 swapByteOffset=0 ti=64 vIdx=1 rIdx=1 oIdx=0 buffer=15 iui=0


/* local read b */

_ds_load_b32 v[vgprValuB_X15_I0+0], v[vgprLocalReadAddrB] offset:0 // L -> Reg lro=0 swapByteOffset=0 ti=64 vIdx=0 rIdx=0 oIdx=0 buffer=15 iui=0


/* local read inc a */

s_mov_b32 s10, 0x400                               // inc
_v_add_co_u32 v[vgprLocalReadAddrA], vcc, s10, v[vgprLocalReadAddrA] // lrA += 1024 (LSU*(MT+PAD)*bpe)


/* local read inc b */

s_mov_b32 s10, 0x18                                // inc
_v_add_co_u32 v[vgprLocalReadAddrB], vcc, s10, v[vgprLocalReadAddrB] // lrB += 24 (LSU*bpe)

s_waitcnt lgkmcnt(0)                               // lgkmcnt=0 vmcnt=-14wait for local read

v_or_b32 v[vgprValuA_X15_I0+0], v[vgprValuA_X15_I0+0], v79 // pack two half Vgpr to one Vgpr
v_or_b32 v[vgprValuA_X15_I0+1], v[vgprValuA_X15_I0+1], v80 // pack two half Vgpr to one Vgpr


/* tail loop mfma iter 15: numReadsIterCoalescedA=1, numReadsIterCoalescedB=1 */
v_and_b32 v79, 63, v[vgprSerial]                   // v79 = v[vgprSerial] % 64
v_lshrrev_b32 v79, 5, v79                          // v79 = v79 / 32
v_lshlrev_b32 v79, 0x1, v79                        // v79 = v79 * 2
v_cmp_ge_i32 s[60:61], v79, s[sgprLoopCounterL]    // check K index >= Size L
v_cndmask_b32 v[vgprValuB_X15_I0+0+0+0+0], v[vgprValuB_X15_I0+0+0+0+0], 0x0, s[60:61] // set 0 if K_idx >= sizeL
_v_sub_u32 v79, s[sgprLoopCounterL], v79           // get distance between size and k index
v_cmp_lt_i32 s[60:61], v79, 2                      // set partial 0 if distance less than input per thread
s_and_b32 s62, s[sgprLoopCounterL], 1              // get inputs for edge thread
s_sub_u32 s62, 2, s62                              // use shift to fill 0 for outside element
s_lshl_b32 s62, s62, 4                             // use shift to fill 0 for outside element
v_mov_b32 v80, -1                                  // set 0xffffffff
v_lshrrev_b32 v80, s62, v80                        // rshift mask for partial k
v_cndmask_b32 v80, -1, v80, s[60:61]               // select shifted mask for partial k
v_and_b32 v[vgprValuB_X15_I0+0+0+0+0], v[vgprValuB_X15_I0+0+0+0+0], v80 // 
s_nop 1
v_mfma_f32_32x32x4bf16 a[0+0:15+0], v[vgprValuA_X15_I0+0+0+0], v[vgprValuB_X15_I0+0+0+0], a[0:15]
v_mfma_f32_32x32x4bf16 a[16+0:31+0], v[vgprValuA_X15_I0+1+0+0], v[vgprValuB_X15_I0+0+0+0], a[16:31]


/* closeLoop loopL finalLoop=1 tailLoop=1 */
s_sub_i32 s[sgprLoopCounterL], s[sgprLoopCounterL], 0x4 // dec counterL (tailLoop)
s_add_u32 s[sgprOrigLoopCounter], s[sgprOrigLoopCounter], 0x4 // inc counterL
s_cmp_le_i32 s[sgprLoopCounterL], 0x0              // counterL<=0
s_cbranch_scc0 TailLoopBeginL_6                    // restart LoopL
TailLoopEndL_7:

SkipTailLoopL_8:

Summation_End_17:
/* endSummation: add vgpr [0...76) to pool */
.set NumFullBlocks, UNDEF
.set WgmRemainder1, UNDEF
.set MagicNumberWgmRemainder1, UNDEF

/* Mapping of Acc register -> C Vgpr register */


	;; [unrolled: 1-line block ×3, first 2 shown]
/* not-LocalSplitU: global write indices */

/* computeStoreVgprs */
v_lshrrev_b32 v4, 6, v[vgprSerial]                 // v4 = v[vgprSerial] / 64
v_lshrrev_b32 v1, 1, v4                            // v1 = v4 / 2
v_mul_lo_u32 v1, 0x20, v1                          // wave coordination offset 1
v_and_b32 v5, 31, v[vgprSerial]                    // v5 = v[vgprSerial] % 32
_v_add_lshl_u32 v1, v5, v1, 0                      // coordination 1 = vwb *(wave_id1 + tid1)
v_mul_lo_u32 v2, v1, s[sgprStrideC1J]              //  offset 1
v_mul_lo_u32 v3, v1, s[sgprStrideD1J]              //  offset 1
v_and_b32 v0, 63, v[vgprSerial]                    // v0 = v[vgprSerial] % 64
v_lshrrev_b32 v0, 5, v0                            // v0 = v0 / 32
v_lshlrev_b32 v0, 0x2, v0                          // thread0 * continuous_output
v_and_b32 v5, 1, v4                                // v5 = v4 % 2
v_mul_lo_u32 v5, 0x20, v5                          // wave coordination offset 0
_v_add_lshl_u32 v0, v5, v0, 0                      // coordination 0 = vwa *(wave_id0 + tid0)
s_mul_i32 s10, 128, s[sgprWorkGroup0]              // wgp0 * MT0
_v_add_u32 v0, s10, v0                             // coord 0 = (tid0/MI_m)*4 + waveG0*MIB_m + MT0*SG0
s_mul_i32 s10, 64, s[sgprWorkGroup1]               // wgp1 * MT1
_v_add_u32 v1, s10, v1                             // coord 1 = (tid0%MI_m) + waveG1*MIB_n + MT1*SG1
/* Store Remap Local Write address */
v_lshrrev_b32 v5, 7, v[vgprSerial]                 // v5 = v[vgprSerial] / 128
v_and_b32 v4, 127, v[vgprSerial]                   // v4 = v[vgprSerial] % 128
v_mul_lo_u32 v13, 0x20, v5                         // coord1 offset of LDS for each Wave
v_and_b32 v5, 0x1f, v[vgprSerial]                  // coord1 offset of LDS for each thread
_v_add_u32 v5, v13, v5                             // coord1 offset in MacroTile
v_mov_b32 v11, 0x84                                // lds stride = MT0 + PAD
v_mul_lo_u32 v9, v5, v11                           // lds coord1 offset = Col-id* lds stride
v_lshrrev_b32 v10, 6, v4                           // v10 = v4 / 64
v_and_b32 v4, 63, v4                               // v4 = v4 % 64
v_lshrrev_b32 v12, 0x5, v4                         // tid / matrixInstN
v_lshlrev_b32 v12, 0x2, v12                        // lds coord0 offset *= 4 (each thread hold 4 element)
v_mad_u32_u24 v12, 32, v10, v12                    // coord0 += waveCoord0 * wave M shape(blockM*MiM)
_v_add_lshl_u32 v7, v9, v12, 0x2                   // local write C address

/* Store Remap Local Read address */
v_lshrrev_b32 v5, 6, v[vgprSerial]                 // v5 = v[vgprSerial] / 64
v_and_b32 v4, 63, v[vgprSerial]                    // v4 = v[vgprSerial] % 64
v_mul_lo_u32 v13, 0x10, v5                         // coord1 offset of LDS for each Wave
v_lshrrev_b32 v10, 0x5, v4                         // tid / nThreadPerCol
_v_add_u32 v6, v13, v10                            // coord1 offset in MacroTile
v_mul_lo_u32 v9, v6, v11                           // lds coord1 offset = Col-id* lds stride
v_and_b32 v12, 0x1f, v4                            // coord0 offset of LDS for each thread
v_lshlrev_b32 v12, 0x2, v12                        // lds coord0 offset *= gwvw (each thread hold gwvw element)
_v_add_lshl_u32 v8, v9, v12, 0x2                   // local read C address

/* Store Remap global write coord0 and coord1 */
v_lshrrev_b32 v5, 7, v[vgprSerial]                 // v5 = v[vgprSerial] / 128
v_and_b32 v4, 127, v[vgprSerial]                   // v4 = v[vgprSerial] % 128
v_mul_lo_u32 v13, 0x20, v5                         // coord1 offset of global memory for each Wave
v_lshrrev_b32 v5, 6, v4                            // v5 = v4 / 64
v_and_b32 v4, 63, v4                               // v4 = v4 % 64
v_mad_u32_u24 v13, 16, v5, v13                     // waveCoord1 += waveCoord0 * MiN / WaveGroupM
v_lshrrev_b32 v10, 0x5, v4                         // tid / nThreadPerCol
_v_add_u32 v6, v13, v10                            // coord1 offset in MacroTile
s_mul_i32 s10, 0x80, s[sgprWorkGroup0]             // s10 = wg0*MT0
_v_add_co_u32 v4, vcc, s10, v12                    // coord0 = coord0 + wg0 * MT0
s_mul_i32 s11, MT1, s[sgprWorkGroup1]              // <- wg1*MT1
_v_add_co_u32 v5, vcc, s11, v6                     // coord1 = tid1*VW + wg1*MT1

s_waitcnt lgkmcnt(0) & vmcnt(0)                    // force waitcnt0
s_barrier //StoreRemap Start


/* not-LocalSplitU: global write */

s_and_b32 s56, 127, s[sgprSizeI]                   // s56 = s[sgprSizeI] % 128
s_add_u32 s57, -0x1, s[sgprNumWorkGroups0]         // 
s_cmp_ge_u32 s[sgprWorkGroup0], s57                // wg0 >= nwg0-1 ?
s_cselect_b32 s56, s56, 0                          // set rMT0
s_cmpk_gt_u32 s56, 0x0                             // rMT0 > 0
s_cbranch_scc1 GW_B0_E1_23                         // jump if edges required
s_and_b32 s56, 63, s[sgprSizeJ]                    // s56 = s[sgprSizeJ] % 64
s_add_u32 s57, -0x1, s[sgprNumWorkGroups1]         // 
s_cmp_ge_u32 s[sgprWorkGroup1], s57                // wg1 >= nwg1-1
s_cselect_b32 s56, s56, 0                          // set rMT1
s_cmpk_gt_u32 s56, 0x0                             // rMT1 > 0
s_cbranch_scc1 GW_B0_E1_23                         // jump if edges required
GW_B0_E0_20:

/* edge=0, allocate 2 sgpr. perBatchTmpS=2 perBatchMaskS=0 perElementMaskS=0 elementsPerBatch=8 */
/* optSingleColVgpr=1 optSharedColVgpr=0 optSGPRUsage=BufferLoad_Mask optSrdIncForRow=1 */

/******************************************/
/* Global Write Alpha Batch #0 (d1,d0,vc1,vc0) = */
/*    (0,0,0,0:vw4); (0,1,0,0:vw4); (0,2,0,0:vw4); (0,3,0,0:vw4); (0,4,0,0:vw4); (0,5,0,0:vw4); (0,6,0,0:vw4); (0,7,0,0:vw4) */
/******************************************/

/* calc coords, apply mask, and issue loads (if necessary) */
/* (d1,vc1,d0,vc0)=(0,0,0,0) */
/* (d1,vc1,d0,vc0)=(0,0,1,0) */
	;; [unrolled: 1-line block ×8, first 2 shown]
_v_add_lshl_u32 v9, v3, v0, 0x2                    // optSingleColVgpr scaleToBpe: sharedAddrVgpr <- cinRowPtr + coord0, scaled by BPE. BSHERE:coord0=0, coord0Vgpr=0
v_accvgpr_read_b32 v[vgprValuC+20], acc0 // copy acc to vreg[0]
v_accvgpr_read_b32 v[vgprValuC+21], acc1 // copy acc to vreg[1]
v_accvgpr_read_b32 v[vgprValuC+22], acc2 // copy acc to vreg[2]
v_accvgpr_read_b32 v[vgprValuC+23], acc3 // copy acc to vreg[3]
v_accvgpr_read_b32 v[vgprValuC+24], acc4 // copy acc to vreg[4]
v_accvgpr_read_b32 v[vgprValuC+25], acc5 // copy acc to vreg[5]
v_accvgpr_read_b32 v[vgprValuC+26], acc6 // copy acc to vreg[6]
v_accvgpr_read_b32 v[vgprValuC+27], acc7 // copy acc to vreg[7]
v_accvgpr_read_b32 v[vgprValuC+28], acc8 // copy acc to vreg[8]
v_accvgpr_read_b32 v[vgprValuC+29], acc9 // copy acc to vreg[9]
v_accvgpr_read_b32 v[vgprValuC+30], acc10 // copy acc to vreg[10]
v_accvgpr_read_b32 v[vgprValuC+31], acc11 // copy acc to vreg[11]
v_accvgpr_read_b32 v[vgprValuC+32], acc12 // copy acc to vreg[12]
v_accvgpr_read_b32 v[vgprValuC+33], acc13 // copy acc to vreg[13]
v_accvgpr_read_b32 v[vgprValuC+34], acc14 // copy acc to vreg[14]
v_accvgpr_read_b32 v[vgprValuC+35], acc15 // copy acc to vreg[15]
v_accvgpr_read_b32 v[vgprValuC+36], acc16 // copy acc to vreg[16]
v_accvgpr_read_b32 v[vgprValuC+37], acc17 // copy acc to vreg[17]
v_accvgpr_read_b32 v[vgprValuC+38], acc18 // copy acc to vreg[18]
v_accvgpr_read_b32 v[vgprValuC+39], acc19 // copy acc to vreg[19]
v_accvgpr_read_b32 v[vgprValuC+40], acc20 // copy acc to vreg[20]
v_accvgpr_read_b32 v[vgprValuC+41], acc21 // copy acc to vreg[21]
v_accvgpr_read_b32 v[vgprValuC+42], acc22 // copy acc to vreg[22]
v_accvgpr_read_b32 v[vgprValuC+43], acc23 // copy acc to vreg[23]
v_accvgpr_read_b32 v[vgprValuC+44], acc24 // copy acc to vreg[24]
v_accvgpr_read_b32 v[vgprValuC+45], acc25 // copy acc to vreg[25]
v_accvgpr_read_b32 v[vgprValuC+46], acc26 // copy acc to vreg[26]
v_accvgpr_read_b32 v[vgprValuC+47], acc27 // copy acc to vreg[27]
v_accvgpr_read_b32 v[vgprValuC+48], acc28 // copy acc to vreg[28]
v_accvgpr_read_b32 v[vgprValuC+49], acc29 // copy acc to vreg[29]
v_accvgpr_read_b32 v[vgprValuC+50], acc30 // copy acc to vreg[30]
v_accvgpr_read_b32 v[vgprValuC+51], acc31 // copy acc to vreg[31]
s_nop 1                                            // 2 wait states required before reading vgpr

/* rC *= alpha batchElements=[(0, 0, 0, 0), (0, 1, 0, 0), (0, 2, 0, 0), (0, 3, 0, 0), (0, 4, 0, 0), (0, 5, 0, 0), (0, 6, 0, 0), (0, 7, 0, 0)] */

/* apply mask, calc new C and issue writes */
v_mov_b32 v13, 0xffff0000                          // mask for pack two bfloat16 element to 32bit
v_mov_b32 v14, 0x7fff0000                          // fp32 Nan
v_mov_b32 v15, 0x7fff                              // rounding bias for bfloat16
_ds_store_b128 v7, v[20:23], offset:0              // storeRemap lw
_ds_store_b128 v7, v[24:27], offset:32             // storeRemap lw
_ds_store_b128 v7, v[28:31], offset:64             // storeRemap lw
	;; [unrolled: 1-line block ×3, first 2 shown]
_ds_store_b128 v7, v[36:39], offset:256            // storeRemap lw
_ds_store_b128 v7, v[40:43], offset:288            // storeRemap lw
	;; [unrolled: 1-line block ×4, first 2 shown]

/* Handle local read and global write */
s_waitcnt lgkmcnt(0)                               // wait for LDS write
s_barrier //wait all lds write finished

_ds_load_b128 v[20:23], v8, offset:0               // storeRemap lr
_ds_load_b128 v[24:27], v8, offset:1056            // storeRemap lr
_ds_load_b128 v[28:31], v8, offset:2112            // storeRemap lr
	;; [unrolled: 1-line block ×7, first 2 shown]

v_mov_b32 v17, v6                                  // coord1
v_mul_lo_u32 v17, v17, s[sgprStrideD1J]            // coord1 offset =  coord1 * StrideD
_v_add_lshl_u32 v17, v17, v4, 0x2                  // global write D address
s_waitcnt lgkmcnt(7)                               // wait for LDS read
_buffer_store_b128 v[20:23], v17, s[sgprSrdD:sgprSrdD+3], 0, offen, offset:0 // store D
_v_add_u32 v17, v6, 2                              // coord1 += nColPerLoad
v_mul_lo_u32 v17, v17, s[sgprStrideD1J]            // coord1 offset =  coord1 * StrideD
_v_add_lshl_u32 v17, v17, v4, 0x2                  // global write D address
s_waitcnt lgkmcnt(6)                               // wait for LDS read
_buffer_store_b128 v[24:27], v17, s[sgprSrdD:sgprSrdD+3], 0, offen, offset:0 // store D
_v_add_u32 v17, v6, 4                              // coord1 += nColPerLoad
	;; [unrolled: 5-line block ×4, first 2 shown]
v_mul_lo_u32 v17, v17, s[sgprStrideD1J]            // coord1 offset =  coord1 * StrideD
_v_add_lshl_u32 v17, v17, v4, 0x2                  // global write D address
s_waitcnt lgkmcnt(3)                               // wait for LDS read
_buffer_store_b128 v[36:39], v17, s[sgprSrdD:sgprSrdD+3], 0, offen, offset:0 // store D
_v_add_u32 v17, v6, 10                             // coord1 += nColPerLoad
v_mul_lo_u32 v17, v17, s[sgprStrideD1J]            // coord1 offset =  coord1 * StrideD
_v_add_lshl_u32 v17, v17, v4, 0x2                  // global write D address
s_waitcnt lgkmcnt(2)                               // wait for LDS read
_buffer_store_b128 v[40:43], v17, s[sgprSrdD:sgprSrdD+3], 0, offen, offset:0 // store D
_v_add_u32 v17, v6, 12                             // coord1 += nColPerLoad
	;; [unrolled: 5-line block ×3, first 2 shown]
v_mul_lo_u32 v17, v17, s[sgprStrideD1J]            // coord1 offset =  coord1 * StrideD
_v_add_lshl_u32 v17, v17, v4, 0x2                  // global write D address
s_waitcnt lgkmcnt(0)                               // wait for LDS read
_buffer_store_b128 v[48:51], v17, s[sgprSrdD:sgprSrdD+3], 0, offen, offset:0 // store D

s_barrier //wait all lds read finished
s_nop 0                                            // 1 wait state required when next inst writes vgprs held by previous dwordx4 store inst
s_branch label_GW_End_25                           // jump to end
GW_B0_E1_23:

/* edge=0, allocate 6 sgpr. perBatchTmpS=4 perBatchMaskS=2 perElementMaskS=0 elementsPerBatch=8 */
/* optSingleColVgpr=0 optSharedColVgpr=0 optSGPRUsage=BufferLoad_Edge_Mask optSrdIncForRow=1 */

/******************************************/
/* Global Write Alpha Edge Batch #0 (d1,d0,vc1,vc0) = */
/*    (0,0,0,0:vw4); (0,1,0,0:vw4); (0,2,0,0:vw4); (0,3,0,0:vw4); (0,4,0,0:vw4); (0,5,0,0:vw4); (0,6,0,0:vw4); (0,7,0,0:vw4) */
/******************************************/

/* calc coords, apply mask, and issue loads (if necessary) */
/* (d1,vc1,d0,vc0)=(0,0,0,0) */
_v_add_lshl_u32 v9, v3, v0, 0x2                    // scaleToBpe: accumulate d0 lower and *= bpe into Cin addr
/* (d1,vc1,d0,vc0)=(0,0,1,0) */
_v_add_co_u32 v10, vcc, v0, 8                      // coord0.1: coord0 += d0*sg0*VW + vc0
_v_add_lshl_u32 v20, v3, v10, 0x2                  // scaleToBpe: accumulate d0 lower and *= bpe into Cin addr
/* (d1,vc1,d0,vc0)=(0,0,2,0) */
_v_add_co_u32 v10, vcc, v0, 16                     // coord0.1: coord0 += d0*sg0*VW + vc0
_v_add_lshl_u32 v21, v3, v10, 0x2                  // scaleToBpe: accumulate d0 lower and *= bpe into Cin addr
/* (d1,vc1,d0,vc0)=(0,0,3,0) */
_v_add_co_u32 v10, vcc, v0, 24                     // coord0.1: coord0 += d0*sg0*VW + vc0
	;; [unrolled: 3-line block ×3, first 2 shown]
_v_add_lshl_u32 v23, v3, v10, 0x2                  // scaleToBpe: accumulate d0 lower and *= bpe into Cin addr
/* (d1,vc1,d0,vc0)=(0,0,5,0) */
s_mov_b32 s56, 72                                  // coordOffset0 d0=5 vc0=0
_v_add_co_u32 v10, vcc, v0, s56                    // coord0.2: coord0 += d0*sg0*VW + vc0
_v_add_lshl_u32 v40, v3, v10, 0x2                  // scaleToBpe: accumulate d0 lower and *= bpe into Cin addr
/* (d1,vc1,d0,vc0)=(0,0,6,0) */
s_mov_b32 s56, 80                                  // coordOffset0 d0=6 vc0=0
_v_add_co_u32 v10, vcc, v0, s56                    // coord0.2: coord0 += d0*sg0*VW + vc0
	;; [unrolled: 4-line block ×3, first 2 shown]
_v_add_lshl_u32 v42, v3, v10, 0x2                  // scaleToBpe: accumulate d0 lower and *= bpe into Cin addr
v_accvgpr_read_b32 v[vgprValuC+16], acc0 // copy acc to vreg[0]
v_accvgpr_read_b32 v[vgprValuC+17], acc1 // copy acc to vreg[1]
v_accvgpr_read_b32 v[vgprValuC+18], acc2 // copy acc to vreg[2]
v_accvgpr_read_b32 v[vgprValuC+19], acc3 // copy acc to vreg[3]
v_accvgpr_read_b32 v[vgprValuC+24], acc4 // copy acc to vreg[4]
v_accvgpr_read_b32 v[vgprValuC+25], acc5 // copy acc to vreg[5]
v_accvgpr_read_b32 v[vgprValuC+26], acc6 // copy acc to vreg[6]
v_accvgpr_read_b32 v[vgprValuC+27], acc7 // copy acc to vreg[7]
v_accvgpr_read_b32 v[vgprValuC+28], acc8 // copy acc to vreg[8]
v_accvgpr_read_b32 v[vgprValuC+29], acc9 // copy acc to vreg[9]
v_accvgpr_read_b32 v[vgprValuC+30], acc10 // copy acc to vreg[10]
v_accvgpr_read_b32 v[vgprValuC+31], acc11 // copy acc to vreg[11]
v_accvgpr_read_b32 v[vgprValuC+32], acc12 // copy acc to vreg[12]
v_accvgpr_read_b32 v[vgprValuC+33], acc13 // copy acc to vreg[13]
v_accvgpr_read_b32 v[vgprValuC+34], acc14 // copy acc to vreg[14]
v_accvgpr_read_b32 v[vgprValuC+35], acc15 // copy acc to vreg[15]
v_accvgpr_read_b32 v[vgprValuC+36], acc16 // copy acc to vreg[16]
v_accvgpr_read_b32 v[vgprValuC+37], acc17 // copy acc to vreg[17]
v_accvgpr_read_b32 v[vgprValuC+38], acc18 // copy acc to vreg[18]
v_accvgpr_read_b32 v[vgprValuC+39], acc19 // copy acc to vreg[19]
v_accvgpr_read_b32 v[vgprValuC+44], acc20 // copy acc to vreg[20]
v_accvgpr_read_b32 v[vgprValuC+45], acc21 // copy acc to vreg[21]
v_accvgpr_read_b32 v[vgprValuC+46], acc22 // copy acc to vreg[22]
v_accvgpr_read_b32 v[vgprValuC+47], acc23 // copy acc to vreg[23]
v_accvgpr_read_b32 v[vgprValuC+48], acc24 // copy acc to vreg[24]
v_accvgpr_read_b32 v[vgprValuC+49], acc25 // copy acc to vreg[25]
v_accvgpr_read_b32 v[vgprValuC+50], acc26 // copy acc to vreg[26]
v_accvgpr_read_b32 v[vgprValuC+51], acc27 // copy acc to vreg[27]
v_accvgpr_read_b32 v[vgprValuC+52], acc28 // copy acc to vreg[28]
v_accvgpr_read_b32 v[vgprValuC+53], acc29 // copy acc to vreg[29]
v_accvgpr_read_b32 v[vgprValuC+54], acc30 // copy acc to vreg[30]
v_accvgpr_read_b32 v[vgprValuC+55], acc31 // copy acc to vreg[31]
s_nop 1                                            // 2 wait states required before reading vgpr

/* rC *= alpha batchElements=[(0, 0, 0, 0), (0, 1, 0, 0), (0, 2, 0, 0), (0, 3, 0, 0), (0, 4, 0, 0), (0, 5, 0, 0), (0, 6, 0, 0), (0, 7, 0, 0)] */

/* apply mask, calc new C and issue writes */
v_mov_b32 v13, 0xffff0000                          // mask for pack two bfloat16 element to 32bit
v_mov_b32 v14, 0x7fff0000                          // fp32 Nan
v_mov_b32 v15, 0x7fff                              // rounding bias for bfloat16
_ds_store_b128 v7, v[16:19], offset:0              // storeRemap lw
_ds_store_b128 v7, v[24:27], offset:32             // storeRemap lw
_ds_store_b128 v7, v[28:31], offset:64             // storeRemap lw
	;; [unrolled: 1-line block ×3, first 2 shown]
_ds_store_b128 v7, v[36:39], offset:256            // storeRemap lw
_ds_store_b128 v7, v[44:47], offset:288            // storeRemap lw
	;; [unrolled: 1-line block ×4, first 2 shown]

/* Handle local read and global write */
s_waitcnt lgkmcnt(0)                               // wait for LDS write
s_barrier //wait all lds write finished

_ds_load_b128 v[16:19], v8, offset:0               // storeRemap lr
_ds_load_b128 v[20:23], v8, offset:1056            // storeRemap lr
_ds_load_b128 v[24:27], v8, offset:2112            // storeRemap lr
	;; [unrolled: 1-line block ×7, first 2 shown]

s_waitcnt lgkmcnt(7)                               // wait for LDS read
_v_add_u32 v11, v5, 0                              // coord1 += nColPerLoad
_v_add_u32 v10, v4, 0                              // coord0 += element index of load vector
_v_add_u32 v9, v6, 0                               // offset coord1 += nColPerLoad
v_cmp_lt_u32 s[56:57], v10, s[sgprSizeI]           // coord0 < size0
v_cmp_lt_u32 s[58:59], v11, s[sgprSizeJ]           // coord1 < size1
s_and_b64 s[58:59], s[56:57], s[58:59]             // in0 && in1
v_mul_lo_u32 v9, v9, s[sgprStrideD1J]              // coord1 element offset =  coord1 * StrideD
_v_add_lshl_u32 v9, v9, v10, 0x2                   // scale to BPE
v_cndmask_b32 v9, -1, v9, s[58:59]                 // clip if OOB. offset
_buffer_store_b128 v[16:19], v9, s[sgprSrdD:sgprSrdD+3], 0, offen, offset:0 // store D
s_waitcnt lgkmcnt(6)                               // wait for LDS read
_v_add_u32 v11, v5, 2                              // coord1 += nColPerLoad
_v_add_u32 v10, v4, 0                              // coord0 += element index of load vector
_v_add_u32 v9, v6, 2                               // offset coord1 += nColPerLoad
v_cmp_lt_u32 s[56:57], v10, s[sgprSizeI]           // coord0 < size0
v_cmp_lt_u32 s[58:59], v11, s[sgprSizeJ]           // coord1 < size1
s_and_b64 s[58:59], s[56:57], s[58:59]             // in0 && in1
v_mul_lo_u32 v9, v9, s[sgprStrideD1J]              // coord1 element offset =  coord1 * StrideD
_v_add_lshl_u32 v9, v9, v10, 0x2                   // scale to BPE
v_cndmask_b32 v9, -1, v9, s[58:59]                 // clip if OOB. offset
_buffer_store_b128 v[20:23], v9, s[sgprSrdD:sgprSrdD+3], 0, offen, offset:0 // store D
	;; [unrolled: 11-line block ×5, first 2 shown]
s_waitcnt lgkmcnt(2)                               // wait for LDS read
_v_add_u32 v11, v5, 10                             // coord1 += nColPerLoad
_v_add_u32 v10, v4, 0                              // coord0 += element index of load vector
_v_add_u32 v9, v6, 10                              // offset coord1 += nColPerLoad
v_cmp_lt_u32 s[56:57], v10, s[sgprSizeI]           // coord0 < size0
v_cmp_lt_u32 s[58:59], v11, s[sgprSizeJ]           // coord1 < size1
s_and_b64 s[58:59], s[56:57], s[58:59]             // in0 && in1
v_mul_lo_u32 v9, v9, s[sgprStrideD1J]              // coord1 element offset =  coord1 * StrideD
_v_add_lshl_u32 v9, v9, v10, 0x2                   // scale to BPE
v_cndmask_b32 v9, -1, v9, s[58:59]                 // clip if OOB. offset
_buffer_store_b128 v[36:39], v9, s[sgprSrdD:sgprSrdD+3], 0, offen, offset:0 // store D
s_waitcnt lgkmcnt(1)                               // wait for LDS read
_v_add_u32 v11, v5, 12                             // coord1 += nColPerLoad
_v_add_u32 v10, v4, 0                              // coord0 += element index of load vector
_v_add_u32 v9, v6, 12                              // offset coord1 += nColPerLoad
v_cmp_lt_u32 s[56:57], v10, s[sgprSizeI]           // coord0 < size0
v_cmp_lt_u32 s[58:59], v11, s[sgprSizeJ]           // coord1 < size1
s_and_b64 s[58:59], s[56:57], s[58:59]             // in0 && in1
v_mul_lo_u32 v9, v9, s[sgprStrideD1J]              // coord1 element offset =  coord1 * StrideD
_v_add_lshl_u32 v9, v9, v10, 0x2                   // scale to BPE
v_cndmask_b32 v9, -1, v9, s[58:59]                 // clip if OOB. offset
_buffer_store_b128 v[40:43], v9, s[sgprSrdD:sgprSrdD+3], 0, offen, offset:0 // store D
	;; [unrolled: 11-line block ×3, first 2 shown]

s_barrier //wait all lds read finished
s_nop 0                                            // 1 wait state required when next inst writes vgprs held by previous dwordx4 store inst
s_branch label_GW_End_25                           // jump to end
label_GW_End_25:

label_0030:  /// KernelEnd
s_endpgm                                           // Kernel End

